;; amdgpu-corpus repo=ROCm/rocFFT kind=compiled arch=gfx1030 opt=O3
	.text
	.amdgcn_target "amdgcn-amd-amdhsa--gfx1030"
	.amdhsa_code_object_version 6
	.protected	fft_rtc_back_len2000_factors_5_5_5_16_wgs_125_tpt_125_halfLds_sp_ip_CI_sbrr_dirReg ; -- Begin function fft_rtc_back_len2000_factors_5_5_5_16_wgs_125_tpt_125_halfLds_sp_ip_CI_sbrr_dirReg
	.globl	fft_rtc_back_len2000_factors_5_5_5_16_wgs_125_tpt_125_halfLds_sp_ip_CI_sbrr_dirReg
	.p2align	8
	.type	fft_rtc_back_len2000_factors_5_5_5_16_wgs_125_tpt_125_halfLds_sp_ip_CI_sbrr_dirReg,@function
fft_rtc_back_len2000_factors_5_5_5_16_wgs_125_tpt_125_halfLds_sp_ip_CI_sbrr_dirReg: ; @fft_rtc_back_len2000_factors_5_5_5_16_wgs_125_tpt_125_halfLds_sp_ip_CI_sbrr_dirReg
; %bb.0:
	s_clause 0x2
	s_load_dwordx2 s[14:15], s[4:5], 0x18
	s_load_dwordx4 s[8:11], s[4:5], 0x0
	s_load_dwordx2 s[12:13], s[4:5], 0x50
	v_mul_u32_u24_e32 v1, 0x20d, v0
	v_mov_b32_e32 v3, 0
	v_add_nc_u32_sdwa v5, s6, v1 dst_sel:DWORD dst_unused:UNUSED_PAD src0_sel:DWORD src1_sel:WORD_1
	v_mov_b32_e32 v1, 0
	v_mov_b32_e32 v6, v3
	v_mov_b32_e32 v2, 0
	s_waitcnt lgkmcnt(0)
	s_load_dwordx2 s[2:3], s[14:15], 0x0
	v_cmp_lt_u64_e64 s0, s[10:11], 2
	s_and_b32 vcc_lo, exec_lo, s0
	s_cbranch_vccnz .LBB0_8
; %bb.1:
	s_load_dwordx2 s[0:1], s[4:5], 0x10
	v_mov_b32_e32 v1, 0
	s_add_u32 s6, s14, 8
	v_mov_b32_e32 v2, 0
	s_addc_u32 s7, s15, 0
	s_mov_b64 s[18:19], 1
	s_waitcnt lgkmcnt(0)
	s_add_u32 s16, s0, 8
	s_addc_u32 s17, s1, 0
.LBB0_2:                                ; =>This Inner Loop Header: Depth=1
	s_load_dwordx2 s[20:21], s[16:17], 0x0
                                        ; implicit-def: $vgpr7_vgpr8
	s_mov_b32 s0, exec_lo
	s_waitcnt lgkmcnt(0)
	v_or_b32_e32 v4, s21, v6
	v_cmpx_ne_u64_e32 0, v[3:4]
	s_xor_b32 s1, exec_lo, s0
	s_cbranch_execz .LBB0_4
; %bb.3:                                ;   in Loop: Header=BB0_2 Depth=1
	v_cvt_f32_u32_e32 v4, s20
	v_cvt_f32_u32_e32 v7, s21
	s_sub_u32 s0, 0, s20
	s_subb_u32 s22, 0, s21
	v_fmac_f32_e32 v4, 0x4f800000, v7
	v_rcp_f32_e32 v4, v4
	v_mul_f32_e32 v4, 0x5f7ffffc, v4
	v_mul_f32_e32 v7, 0x2f800000, v4
	v_trunc_f32_e32 v7, v7
	v_fmac_f32_e32 v4, 0xcf800000, v7
	v_cvt_u32_f32_e32 v7, v7
	v_cvt_u32_f32_e32 v4, v4
	v_mul_lo_u32 v8, s0, v7
	v_mul_hi_u32 v9, s0, v4
	v_mul_lo_u32 v10, s22, v4
	v_add_nc_u32_e32 v8, v9, v8
	v_mul_lo_u32 v9, s0, v4
	v_add_nc_u32_e32 v8, v8, v10
	v_mul_hi_u32 v10, v4, v9
	v_mul_lo_u32 v11, v4, v8
	v_mul_hi_u32 v12, v4, v8
	v_mul_hi_u32 v13, v7, v9
	v_mul_lo_u32 v9, v7, v9
	v_mul_hi_u32 v14, v7, v8
	v_mul_lo_u32 v8, v7, v8
	v_add_co_u32 v10, vcc_lo, v10, v11
	v_add_co_ci_u32_e32 v11, vcc_lo, 0, v12, vcc_lo
	v_add_co_u32 v9, vcc_lo, v10, v9
	v_add_co_ci_u32_e32 v9, vcc_lo, v11, v13, vcc_lo
	v_add_co_ci_u32_e32 v10, vcc_lo, 0, v14, vcc_lo
	v_add_co_u32 v8, vcc_lo, v9, v8
	v_add_co_ci_u32_e32 v9, vcc_lo, 0, v10, vcc_lo
	v_add_co_u32 v4, vcc_lo, v4, v8
	v_add_co_ci_u32_e32 v7, vcc_lo, v7, v9, vcc_lo
	v_mul_hi_u32 v8, s0, v4
	v_mul_lo_u32 v10, s22, v4
	v_mul_lo_u32 v9, s0, v7
	v_add_nc_u32_e32 v8, v8, v9
	v_mul_lo_u32 v9, s0, v4
	v_add_nc_u32_e32 v8, v8, v10
	v_mul_hi_u32 v10, v4, v9
	v_mul_lo_u32 v11, v4, v8
	v_mul_hi_u32 v12, v4, v8
	v_mul_hi_u32 v13, v7, v9
	v_mul_lo_u32 v9, v7, v9
	v_mul_hi_u32 v14, v7, v8
	v_mul_lo_u32 v8, v7, v8
	v_add_co_u32 v10, vcc_lo, v10, v11
	v_add_co_ci_u32_e32 v11, vcc_lo, 0, v12, vcc_lo
	v_add_co_u32 v9, vcc_lo, v10, v9
	v_add_co_ci_u32_e32 v9, vcc_lo, v11, v13, vcc_lo
	v_add_co_ci_u32_e32 v10, vcc_lo, 0, v14, vcc_lo
	v_add_co_u32 v8, vcc_lo, v9, v8
	v_add_co_ci_u32_e32 v9, vcc_lo, 0, v10, vcc_lo
	v_add_co_u32 v4, vcc_lo, v4, v8
	v_add_co_ci_u32_e32 v11, vcc_lo, v7, v9, vcc_lo
	v_mul_hi_u32 v13, v5, v4
	v_mad_u64_u32 v[9:10], null, v6, v4, 0
	v_mad_u64_u32 v[7:8], null, v5, v11, 0
	;; [unrolled: 1-line block ×3, first 2 shown]
	v_add_co_u32 v4, vcc_lo, v13, v7
	v_add_co_ci_u32_e32 v7, vcc_lo, 0, v8, vcc_lo
	v_add_co_u32 v4, vcc_lo, v4, v9
	v_add_co_ci_u32_e32 v4, vcc_lo, v7, v10, vcc_lo
	v_add_co_ci_u32_e32 v7, vcc_lo, 0, v12, vcc_lo
	v_add_co_u32 v4, vcc_lo, v4, v11
	v_add_co_ci_u32_e32 v9, vcc_lo, 0, v7, vcc_lo
	v_mul_lo_u32 v10, s21, v4
	v_mad_u64_u32 v[7:8], null, s20, v4, 0
	v_mul_lo_u32 v11, s20, v9
	v_sub_co_u32 v7, vcc_lo, v5, v7
	v_add3_u32 v8, v8, v11, v10
	v_sub_nc_u32_e32 v10, v6, v8
	v_subrev_co_ci_u32_e64 v10, s0, s21, v10, vcc_lo
	v_add_co_u32 v11, s0, v4, 2
	v_add_co_ci_u32_e64 v12, s0, 0, v9, s0
	v_sub_co_u32 v13, s0, v7, s20
	v_sub_co_ci_u32_e32 v8, vcc_lo, v6, v8, vcc_lo
	v_subrev_co_ci_u32_e64 v10, s0, 0, v10, s0
	v_cmp_le_u32_e32 vcc_lo, s20, v13
	v_cmp_eq_u32_e64 s0, s21, v8
	v_cndmask_b32_e64 v13, 0, -1, vcc_lo
	v_cmp_le_u32_e32 vcc_lo, s21, v10
	v_cndmask_b32_e64 v14, 0, -1, vcc_lo
	v_cmp_le_u32_e32 vcc_lo, s20, v7
	;; [unrolled: 2-line block ×3, first 2 shown]
	v_cndmask_b32_e64 v15, 0, -1, vcc_lo
	v_cmp_eq_u32_e32 vcc_lo, s21, v10
	v_cndmask_b32_e64 v7, v15, v7, s0
	v_cndmask_b32_e32 v10, v14, v13, vcc_lo
	v_add_co_u32 v13, vcc_lo, v4, 1
	v_add_co_ci_u32_e32 v14, vcc_lo, 0, v9, vcc_lo
	v_cmp_ne_u32_e32 vcc_lo, 0, v10
	v_cndmask_b32_e32 v8, v14, v12, vcc_lo
	v_cndmask_b32_e32 v10, v13, v11, vcc_lo
	v_cmp_ne_u32_e32 vcc_lo, 0, v7
	v_cndmask_b32_e32 v8, v9, v8, vcc_lo
	v_cndmask_b32_e32 v7, v4, v10, vcc_lo
.LBB0_4:                                ;   in Loop: Header=BB0_2 Depth=1
	s_andn2_saveexec_b32 s0, s1
	s_cbranch_execz .LBB0_6
; %bb.5:                                ;   in Loop: Header=BB0_2 Depth=1
	v_cvt_f32_u32_e32 v4, s20
	s_sub_i32 s1, 0, s20
	v_rcp_iflag_f32_e32 v4, v4
	v_mul_f32_e32 v4, 0x4f7ffffe, v4
	v_cvt_u32_f32_e32 v4, v4
	v_mul_lo_u32 v7, s1, v4
	v_mul_hi_u32 v7, v4, v7
	v_add_nc_u32_e32 v4, v4, v7
	v_mul_hi_u32 v4, v5, v4
	v_mul_lo_u32 v7, v4, s20
	v_add_nc_u32_e32 v8, 1, v4
	v_sub_nc_u32_e32 v7, v5, v7
	v_subrev_nc_u32_e32 v9, s20, v7
	v_cmp_le_u32_e32 vcc_lo, s20, v7
	v_cndmask_b32_e32 v7, v7, v9, vcc_lo
	v_cndmask_b32_e32 v4, v4, v8, vcc_lo
	v_cmp_le_u32_e32 vcc_lo, s20, v7
	v_add_nc_u32_e32 v8, 1, v4
	v_cndmask_b32_e32 v7, v4, v8, vcc_lo
	v_mov_b32_e32 v8, v3
.LBB0_6:                                ;   in Loop: Header=BB0_2 Depth=1
	s_or_b32 exec_lo, exec_lo, s0
	s_load_dwordx2 s[0:1], s[6:7], 0x0
	v_mul_lo_u32 v4, v8, s20
	v_mul_lo_u32 v11, v7, s21
	v_mad_u64_u32 v[9:10], null, v7, s20, 0
	s_add_u32 s18, s18, 1
	s_addc_u32 s19, s19, 0
	s_add_u32 s6, s6, 8
	s_addc_u32 s7, s7, 0
	;; [unrolled: 2-line block ×3, first 2 shown]
	v_add3_u32 v4, v10, v11, v4
	v_sub_co_u32 v5, vcc_lo, v5, v9
	v_sub_co_ci_u32_e32 v4, vcc_lo, v6, v4, vcc_lo
	s_waitcnt lgkmcnt(0)
	v_mul_lo_u32 v6, s1, v5
	v_mul_lo_u32 v4, s0, v4
	v_mad_u64_u32 v[1:2], null, s0, v5, v[1:2]
	v_cmp_ge_u64_e64 s0, s[18:19], s[10:11]
	s_and_b32 vcc_lo, exec_lo, s0
	v_add3_u32 v2, v6, v2, v4
	s_cbranch_vccnz .LBB0_9
; %bb.7:                                ;   in Loop: Header=BB0_2 Depth=1
	v_mov_b32_e32 v5, v7
	v_mov_b32_e32 v6, v8
	s_branch .LBB0_2
.LBB0_8:
	v_mov_b32_e32 v8, v6
	v_mov_b32_e32 v7, v5
.LBB0_9:
	s_lshl_b64 s[0:1], s[10:11], 3
	v_mul_hi_u32 v3, 0x20c49bb, v0
	s_add_u32 s0, s14, s0
	s_addc_u32 s1, s15, s1
	s_load_dwordx2 s[0:1], s[0:1], 0x0
	s_load_dwordx2 s[4:5], s[4:5], 0x20
	v_mul_u32_u24_e32 v3, 0x7d, v3
	v_sub_nc_u32_e32 v55, v0, v3
	v_add_nc_u32_e32 v57, 0x7d, v55
	v_add_nc_u32_e32 v56, 0xfa, v55
	s_waitcnt lgkmcnt(0)
	v_mul_lo_u32 v4, s0, v8
	v_mul_lo_u32 v5, s1, v7
	v_mad_u64_u32 v[1:2], null, s0, v7, v[1:2]
	v_cmp_gt_u64_e32 vcc_lo, s[4:5], v[7:8]
	v_cmp_le_u64_e64 s0, s[4:5], v[7:8]
                                        ; implicit-def: $sgpr4
	v_add3_u32 v2, v5, v2, v4
	s_and_saveexec_b32 s1, s0
	s_xor_b32 s0, exec_lo, s1
; %bb.10:
	v_add_nc_u32_e32 v57, 0x7d, v55
	v_add_nc_u32_e32 v56, 0xfa, v55
	s_mov_b32 s4, 0
; %bb.11:
	s_or_saveexec_b32 s1, s0
	v_lshlrev_b64 v[28:29], 3, v[1:2]
	v_mov_b32_e32 v54, s4
                                        ; implicit-def: $vgpr1
                                        ; implicit-def: $vgpr23
                                        ; implicit-def: $vgpr25
                                        ; implicit-def: $vgpr7
                                        ; implicit-def: $vgpr41
                                        ; implicit-def: $vgpr3
                                        ; implicit-def: $vgpr27
                                        ; implicit-def: $vgpr31
                                        ; implicit-def: $vgpr43
                                        ; implicit-def: $vgpr47
                                        ; implicit-def: $vgpr5
                                        ; implicit-def: $vgpr33
                                        ; implicit-def: $vgpr35
                                        ; implicit-def: $vgpr37
                                        ; implicit-def: $vgpr39
                                        ; implicit-def: $vgpr45
                                        ; implicit-def: $vgpr53
                                        ; implicit-def: $vgpr51
                                        ; implicit-def: $vgpr49
                                        ; implicit-def: $vgpr9
	s_xor_b32 exec_lo, exec_lo, s1
	s_cbranch_execz .LBB0_15
; %bb.12:
	v_add_nc_u32_e32 v9, 0x190, v55
	v_mad_u64_u32 v[0:1], null, s2, v55, 0
	v_add_nc_u32_e32 v13, 0x320, v55
	v_add_nc_u32_e32 v14, 0x4b0, v55
	v_mad_u64_u32 v[2:3], null, s2, v9, 0
	v_add_nc_u32_e32 v15, 0x640, v55
	;; [unrolled: 3-line block ×3, first 2 shown]
	v_add_nc_u32_e32 v32, 0x41a, v55
	v_mad_u64_u32 v[4:5], null, s3, v55, v[1:2]
	v_mov_b32_e32 v1, v3
	v_mad_u64_u32 v[5:6], null, s2, v13, 0
	v_add_nc_u32_e32 v35, 0x5aa, v55
	s_mov_b32 s4, exec_lo
	v_mad_u64_u32 v[11:12], null, s3, v9, v[1:2]
	v_mov_b32_e32 v1, v4
	v_add_co_u32 v9, s0, s12, v28
	v_mov_b32_e32 v4, v6
	v_mov_b32_e32 v6, v8
	v_lshlrev_b64 v[0:1], 3, v[0:1]
	v_mov_b32_e32 v3, v11
	v_add_co_ci_u32_e64 v10, s0, s13, v29, s0
	v_mad_u64_u32 v[11:12], null, s3, v13, v[4:5]
	v_mad_u64_u32 v[12:13], null, s3, v14, v[6:7]
	;; [unrolled: 1-line block ×3, first 2 shown]
	v_lshlrev_b64 v[2:3], 3, v[2:3]
	v_add_co_u32 v0, s0, v9, v0
	v_mov_b32_e32 v6, v11
	v_mov_b32_e32 v8, v12
	v_add_co_ci_u32_e64 v1, s0, v10, v1, s0
	v_mov_b32_e32 v4, v14
	v_lshlrev_b64 v[5:6], 3, v[5:6]
	v_add_co_u32 v2, s0, v9, v2
	v_lshlrev_b64 v[7:8], 3, v[7:8]
	v_add_co_ci_u32_e64 v3, s0, v10, v3, s0
	v_mad_u64_u32 v[11:12], null, s3, v15, v[4:5]
	v_add_co_u32 v4, s0, v9, v5
	v_add_co_ci_u32_e64 v5, s0, v10, v6, s0
	v_add_co_u32 v6, s0, v9, v7
	v_add_co_ci_u32_e64 v7, s0, v10, v8, s0
	s_clause 0x3
	global_load_dwordx2 v[0:1], v[0:1], off
	global_load_dwordx2 v[22:23], v[2:3], off
	;; [unrolled: 1-line block ×4, first 2 shown]
	v_mad_u64_u32 v[15:16], null, s2, v57, 0
	v_mov_b32_e32 v14, v11
	v_mad_u64_u32 v[11:12], null, s2, v18, 0
                                        ; implicit-def: $vgpr48
                                        ; implicit-def: $vgpr50
                                        ; implicit-def: $vgpr52
                                        ; implicit-def: $vgpr44
	v_lshlrev_b64 v[2:3], 3, v[13:14]
	v_mov_b32_e32 v8, v16
	v_mov_b32_e32 v4, v12
	v_mad_u64_u32 v[16:17], null, s3, v57, v[8:9]
	v_add_nc_u32_e32 v8, 0x39d, v55
	v_mad_u64_u32 v[4:5], null, s3, v18, v[4:5]
	v_add_co_u32 v2, s0, v9, v2
	v_mad_u64_u32 v[13:14], null, s2, v8, 0
	v_add_co_ci_u32_e64 v3, s0, v10, v3, s0
	v_mov_b32_e32 v12, v4
	v_mov_b32_e32 v5, v14
	v_lshlrev_b64 v[14:15], 3, v[15:16]
	v_mad_u64_u32 v[16:17], null, s2, v20, 0
	v_add_co_u32 v18, s0, v9, v14
	v_add_co_ci_u32_e64 v19, s0, v10, v15, s0
	v_add_nc_u32_e32 v15, 0x6bd, v55
	s_waitcnt vmcnt(0)
	v_mad_u64_u32 v[4:5], null, s3, v8, v[5:6]
	v_mov_b32_e32 v8, v17
	v_mad_u64_u32 v[20:21], null, s3, v20, v[8:9]
	v_mov_b32_e32 v14, v4
	v_lshlrev_b64 v[4:5], 3, v[11:12]
	v_mad_u64_u32 v[11:12], null, s2, v15, 0
	v_lshlrev_b64 v[13:14], 3, v[13:14]
	v_mov_b32_e32 v17, v20
	v_add_co_u32 v4, s0, v9, v4
	v_add_co_ci_u32_e64 v5, s0, v10, v5, s0
	v_mov_b32_e32 v8, v12
	v_add_co_u32 v12, s0, v9, v13
	v_mad_u64_u32 v[20:21], null, s2, v56, 0
	v_add_co_ci_u32_e64 v13, s0, v10, v14, s0
	v_mad_u64_u32 v[14:15], null, s3, v15, v[8:9]
	s_clause 0x3
	global_load_dwordx2 v[40:41], v[2:3], off
	global_load_dwordx2 v[2:3], v[18:19], off
	;; [unrolled: 1-line block ×4, first 2 shown]
	v_add_nc_u32_e32 v18, 0x28a, v55
	v_mov_b32_e32 v8, v21
	v_lshlrev_b64 v[4:5], 3, v[16:17]
	v_mov_b32_e32 v12, v14
	v_mad_u64_u32 v[13:14], null, s2, v18, 0
	v_mad_u64_u32 v[15:16], null, s3, v56, v[8:9]
	;; [unrolled: 1-line block ×3, first 2 shown]
	v_lshlrev_b64 v[11:12], 3, v[11:12]
	v_add_co_u32 v4, s0, v9, v4
	v_mov_b32_e32 v8, v14
	v_mov_b32_e32 v21, v15
	v_add_co_ci_u32_e64 v5, s0, v10, v5, s0
	v_add_co_u32 v11, s0, v9, v11
	v_mad_u64_u32 v[14:15], null, s3, v18, v[8:9]
	v_mov_b32_e32 v8, v17
	v_add_nc_u32_e32 v15, 0x73a, v55
	v_mad_u64_u32 v[18:19], null, s2, v35, 0
	v_add_co_ci_u32_e64 v12, s0, v10, v12, s0
	v_mad_u64_u32 v[32:33], null, s3, v32, v[8:9]
	v_mad_u64_u32 v[33:34], null, s2, v15, 0
	v_mov_b32_e32 v8, v19
	v_lshlrev_b64 v[19:20], 3, v[20:21]
	v_lshlrev_b64 v[13:14], 3, v[13:14]
	v_mov_b32_e32 v17, v32
	v_mad_u64_u32 v[35:36], null, s3, v35, v[8:9]
	v_mov_b32_e32 v8, v34
	v_add_co_u32 v36, s0, v9, v19
	v_add_co_ci_u32_e64 v37, s0, v10, v20, s0
	v_mad_u64_u32 v[20:21], null, s3, v15, v[8:9]
	v_mov_b32_e32 v19, v35
	v_lshlrev_b64 v[15:16], 3, v[16:17]
	v_add_co_u32 v13, s0, v9, v13
	v_add_co_ci_u32_e64 v14, s0, v10, v14, s0
	v_mov_b32_e32 v34, v20
	v_lshlrev_b64 v[17:18], 3, v[18:19]
	v_add_co_u32 v15, s0, v9, v15
	v_add_co_ci_u32_e64 v16, s0, v10, v16, s0
	v_lshlrev_b64 v[19:20], 3, v[33:34]
	v_add_co_u32 v17, s0, v9, v17
	v_add_co_ci_u32_e64 v18, s0, v10, v18, s0
                                        ; implicit-def: $vgpr8
	v_add_co_u32 v19, s0, v9, v19
	v_add_co_ci_u32_e64 v20, s0, v10, v20, s0
	s_clause 0x6
	global_load_dwordx2 v[42:43], v[4:5], off
	global_load_dwordx2 v[46:47], v[11:12], off
	;; [unrolled: 1-line block ×7, first 2 shown]
	v_cmpx_gt_u32_e32 25, v55
	s_cbranch_execz .LBB0_14
; %bb.13:
	v_add_nc_u32_e32 v19, 0x177, v55
	v_add_nc_u32_e32 v44, 0x307, v55
	;; [unrolled: 1-line block ×5, first 2 shown]
	v_mad_u64_u32 v[11:12], null, s2, v19, 0
	v_mad_u64_u32 v[13:14], null, s2, v44, 0
	;; [unrolled: 1-line block ×4, first 2 shown]
	v_mov_b32_e32 v8, v12
	v_mov_b32_e32 v12, v14
	v_mad_u64_u32 v[19:20], null, s3, v19, v[8:9]
	v_mad_u64_u32 v[20:21], null, s2, v51, 0
	v_mov_b32_e32 v8, v16
	v_mad_u64_u32 v[44:45], null, s3, v44, v[12:13]
	v_mov_b32_e32 v12, v19
	;; [unrolled: 2-line block ×3, first 2 shown]
	v_mov_b32_e32 v18, v21
	v_mov_b32_e32 v14, v44
	v_lshlrev_b64 v[11:12], 3, v[11:12]
	v_mad_u64_u32 v[44:45], null, s3, v50, v[8:9]
	v_mov_b32_e32 v16, v48
	v_mad_u64_u32 v[48:49], null, s3, v51, v[18:19]
	v_lshlrev_b64 v[13:14], 3, v[13:14]
	v_add_co_u32 v11, s0, v9, v11
	v_mov_b32_e32 v18, v44
	v_lshlrev_b64 v[15:16], 3, v[15:16]
	v_add_co_ci_u32_e64 v12, s0, v10, v12, s0
	v_mov_b32_e32 v21, v48
	v_add_co_u32 v13, s0, v9, v13
	v_lshlrev_b64 v[17:18], 3, v[17:18]
	v_add_co_ci_u32_e64 v14, s0, v10, v14, s0
	v_add_co_u32 v15, s0, v9, v15
	v_lshlrev_b64 v[19:20], 3, v[20:21]
	v_add_co_ci_u32_e64 v16, s0, v10, v16, s0
	v_add_co_u32 v17, s0, v9, v17
	v_add_co_ci_u32_e64 v18, s0, v10, v18, s0
	v_add_co_u32 v19, s0, v9, v19
	v_add_co_ci_u32_e64 v20, s0, v10, v20, s0
	s_clause 0x4
	global_load_dwordx2 v[8:9], v[11:12], off
	global_load_dwordx2 v[48:49], v[13:14], off
	;; [unrolled: 1-line block ×5, first 2 shown]
.LBB0_14:
	s_or_b32 exec_lo, exec_lo, s4
	v_mov_b32_e32 v54, v55
.LBB0_15:
	s_or_b32 exec_lo, exec_lo, s1
	v_add_f32_e32 v10, v24, v6
	s_waitcnt vmcnt(10)
	v_sub_f32_e32 v12, v23, v41
	v_add_f32_e32 v14, v22, v40
	v_add_f32_e32 v11, v0, v22
	v_sub_f32_e32 v13, v25, v7
	v_fma_f32 v10, -0.5, v10, v0
	v_sub_f32_e32 v15, v22, v24
	v_sub_f32_e32 v16, v40, v6
	v_fmac_f32_e32 v0, -0.5, v14
	v_sub_f32_e32 v17, v24, v22
	v_fmamk_f32 v14, v12, 0xbf737871, v10
	v_fmac_f32_e32 v10, 0x3f737871, v12
	v_sub_f32_e32 v19, v6, v40
	v_fmamk_f32 v18, v13, 0x3f737871, v0
	v_add_f32_e32 v15, v15, v16
	v_fmac_f32_e32 v14, 0xbf167918, v13
	v_fmac_f32_e32 v10, 0x3f167918, v13
	;; [unrolled: 1-line block ×3, first 2 shown]
	s_waitcnt vmcnt(6)
	v_add_f32_e32 v16, v30, v42
	v_fmac_f32_e32 v18, 0xbf167918, v12
	v_add_f32_e32 v13, v17, v19
	v_fmac_f32_e32 v14, 0x3e9e377a, v15
	v_fmac_f32_e32 v10, 0x3e9e377a, v15
	;; [unrolled: 1-line block ×3, first 2 shown]
	v_fma_f32 v12, -0.5, v16, v2
	s_waitcnt vmcnt(5)
	v_add_f32_e32 v15, v26, v46
	v_sub_f32_e32 v16, v27, v47
	v_fmac_f32_e32 v18, 0x3e9e377a, v13
	v_fmac_f32_e32 v0, 0x3e9e377a, v13
	v_add_f32_e32 v13, v2, v26
	v_sub_f32_e32 v17, v31, v43
	v_fmac_f32_e32 v2, -0.5, v15
	v_fmamk_f32 v15, v16, 0xbf737871, v12
	v_sub_f32_e32 v19, v26, v30
	v_sub_f32_e32 v20, v46, v42
	v_fmac_f32_e32 v12, 0x3f737871, v16
	v_add_f32_e32 v11, v11, v24
	v_fmamk_f32 v21, v17, 0x3f737871, v2
	v_sub_f32_e32 v58, v30, v26
	v_sub_f32_e32 v59, v42, v46
	v_fmac_f32_e32 v15, 0xbf167918, v17
	v_add_f32_e32 v19, v19, v20
	v_fmac_f32_e32 v12, 0x3f167918, v17
	v_fmac_f32_e32 v2, 0xbf737871, v17
	s_waitcnt vmcnt(1)
	v_add_f32_e32 v17, v34, v36
	v_add_f32_e32 v11, v11, v6
	;; [unrolled: 1-line block ×3, first 2 shown]
	v_fmac_f32_e32 v15, 0x3e9e377a, v19
	v_fmac_f32_e32 v12, 0x3e9e377a, v19
	v_fma_f32 v17, -0.5, v17, v4
	s_waitcnt vmcnt(0)
	v_add_f32_e32 v19, v32, v38
	v_sub_f32_e32 v58, v33, v39
	v_fmac_f32_e32 v21, 0xbf167918, v16
	v_fmac_f32_e32 v2, 0x3f167918, v16
	v_add_f32_e32 v16, v4, v32
	v_sub_f32_e32 v59, v32, v34
	v_sub_f32_e32 v60, v38, v36
	;; [unrolled: 1-line block ×3, first 2 shown]
	v_fmac_f32_e32 v4, -0.5, v19
	v_fmamk_f32 v19, v58, 0xbf737871, v17
	v_fmac_f32_e32 v17, 0x3f737871, v58
	v_add_f32_e32 v11, v11, v40
	v_mad_u32_u24 v66, v55, 20, 0
	v_fmac_f32_e32 v21, 0x3e9e377a, v20
	v_fmac_f32_e32 v2, 0x3e9e377a, v20
	v_add_f32_e32 v20, v59, v60
	v_fmamk_f32 v60, v61, 0x3f737871, v4
	v_sub_f32_e32 v59, v34, v32
	v_sub_f32_e32 v62, v36, v38
	v_fmac_f32_e32 v19, 0xbf167918, v61
	v_fmac_f32_e32 v17, 0x3f167918, v61
	;; [unrolled: 1-line block ×3, first 2 shown]
	v_add_f32_e32 v61, v52, v50
	ds_write2_b32 v66, v11, v14 offset1:1
	v_add_f32_e32 v11, v44, v48
	v_fmac_f32_e32 v60, 0xbf167918, v58
	v_add_f32_e32 v59, v59, v62
	v_fmac_f32_e32 v19, 0x3e9e377a, v20
	v_fmac_f32_e32 v17, 0x3e9e377a, v20
	;; [unrolled: 1-line block ×3, first 2 shown]
	v_fma_f32 v63, -0.5, v61, v8
	v_sub_f32_e32 v20, v48, v50
	v_sub_f32_e32 v58, v49, v45
	;; [unrolled: 1-line block ×3, first 2 shown]
	v_add_f32_e32 v14, v48, v8
	v_sub_f32_e32 v62, v51, v53
	v_fmac_f32_e32 v8, -0.5, v11
	v_fmac_f32_e32 v60, 0x3e9e377a, v59
	v_fmamk_f32 v64, v58, 0xbf737871, v63
	v_fmac_f32_e32 v63, 0x3f737871, v58
	v_fmac_f32_e32 v4, 0x3e9e377a, v59
	v_add_f32_e32 v11, v61, v20
	v_fmamk_f32 v65, v62, 0x3f737871, v8
	v_sub_f32_e32 v20, v50, v48
	v_sub_f32_e32 v59, v52, v44
	v_add_f32_e32 v13, v13, v30
	v_add_f32_e32 v14, v50, v14
	v_fmac_f32_e32 v8, 0xbf737871, v62
	v_add_f32_e32 v16, v16, v34
	v_fmac_f32_e32 v64, 0xbf167918, v62
	v_fmac_f32_e32 v63, 0x3f167918, v62
	v_add_f32_e32 v20, v59, v20
	v_add_f32_e32 v13, v13, v42
	v_add_f32_e32 v14, v52, v14
	v_fmac_f32_e32 v65, 0xbf167918, v58
	v_fmac_f32_e32 v8, 0x3f167918, v58
	v_add_f32_e32 v16, v16, v36
	v_add_f32_e32 v13, v13, v46
	;; [unrolled: 1-line block ×3, first 2 shown]
	v_fmac_f32_e32 v64, 0x3e9e377a, v11
	v_fmac_f32_e32 v63, 0x3e9e377a, v11
	;; [unrolled: 1-line block ×3, first 2 shown]
	v_mad_i32_i24 v67, v57, 20, 0
	v_fmac_f32_e32 v8, 0x3e9e377a, v20
	ds_write2_b32 v66, v18, v0 offset0:2 offset1:3
	ds_write_b32 v66, v10 offset:16
	v_mad_i32_i24 v0, v56, 20, 0
	v_cmp_gt_u32_e64 s0, 25, v55
	v_add_f32_e32 v16, v16, v38
	ds_write2_b32 v67, v13, v15 offset1:1
	ds_write2_b32 v67, v21, v2 offset0:2 offset1:3
	ds_write_b32 v67, v12 offset:16
	ds_write2_b32 v0, v16, v19 offset1:1
	ds_write2_b32 v0, v60, v4 offset0:2 offset1:3
	ds_write_b32 v0, v17 offset:16
	s_and_saveexec_b32 s1, s0
	s_cbranch_execz .LBB0_17
; %bb.16:
	v_add_nc_u32_e32 v2, 0x1d4c, v66
	v_add_nc_u32_e32 v4, 0x1d54, v66
	ds_write2_b32 v2, v59, v64 offset1:1
	ds_write2_b32 v4, v65, v8 offset1:1
	ds_write_b32 v66, v63 offset:7516
.LBB0_17:
	s_or_b32 exec_lo, exec_lo, s1
	v_lshlrev_b32_e32 v2, 4, v55
	v_lshlrev_b32_e32 v4, 4, v56
	s_waitcnt lgkmcnt(0)
	s_barrier
	buffer_gl0_inv
	v_sub_nc_u32_e32 v58, v66, v2
	v_lshlrev_b32_e32 v2, 4, v57
	v_sub_nc_u32_e32 v68, v0, v4
	v_add_nc_u32_e32 v10, 0x600, v58
	v_add_nc_u32_e32 v16, 0xe00, v58
	;; [unrolled: 1-line block ×6, first 2 shown]
	v_sub_nc_u32_e32 v61, v67, v2
	ds_read2_b32 v[20:21], v10 offset0:16 offset1:141
	ds_read2_b32 v[18:19], v11 offset0:10 offset1:160
	;; [unrolled: 1-line block ×6, first 2 shown]
	ds_read_b32 v62, v58
	ds_read_b32 v61, v61
	;; [unrolled: 1-line block ×3, first 2 shown]
	s_and_saveexec_b32 s1, s0
	s_cbranch_execz .LBB0_19
; %bb.18:
	ds_read_b32 v59, v58 offset:1500
	ds_read_b32 v64, v58 offset:3100
	;; [unrolled: 1-line block ×5, first 2 shown]
.LBB0_19:
	s_or_b32 exec_lo, exec_lo, s1
	v_add_f32_e32 v68, v25, v7
	v_add_f32_e32 v69, v1, v23
	v_sub_f32_e32 v22, v22, v40
	v_sub_f32_e32 v6, v24, v6
	;; [unrolled: 1-line block ×3, first 2 shown]
	v_fma_f32 v24, -0.5, v68, v1
	v_sub_f32_e32 v68, v41, v7
	v_add_f32_e32 v70, v23, v41
	v_add_f32_e32 v69, v69, v25
	v_sub_f32_e32 v23, v25, v23
	v_fmamk_f32 v71, v22, 0x3f737871, v24
	v_add_f32_e32 v40, v40, v68
	v_fmac_f32_e32 v1, -0.5, v70
	v_add_f32_e32 v68, v69, v7
	v_fmac_f32_e32 v24, 0xbf737871, v22
	v_fmac_f32_e32 v71, 0x3f167918, v6
	v_sub_f32_e32 v7, v7, v41
	v_fmamk_f32 v25, v6, 0xbf737871, v1
	v_add_f32_e32 v68, v68, v41
	v_fmac_f32_e32 v24, 0xbf167918, v6
	v_add_f32_e32 v41, v3, v27
	v_add_f32_e32 v69, v31, v43
	v_fmac_f32_e32 v1, 0x3f737871, v6
	v_fmac_f32_e32 v71, 0x3e9e377a, v40
	;; [unrolled: 1-line block ×3, first 2 shown]
	v_add_f32_e32 v7, v23, v7
	v_add_f32_e32 v6, v41, v31
	v_fma_f32 v23, -0.5, v69, v3
	v_sub_f32_e32 v26, v26, v46
	v_fmac_f32_e32 v24, 0x3e9e377a, v40
	v_fmac_f32_e32 v1, 0xbf167918, v22
	v_add_f32_e32 v40, v27, v47
	v_sub_f32_e32 v30, v30, v42
	v_sub_f32_e32 v41, v27, v31
	;; [unrolled: 1-line block ×3, first 2 shown]
	v_fmac_f32_e32 v25, 0x3e9e377a, v7
	v_fmamk_f32 v22, v26, 0x3f737871, v23
	v_fmac_f32_e32 v1, 0x3e9e377a, v7
	v_fmac_f32_e32 v3, -0.5, v40
	v_add_f32_e32 v7, v41, v42
	v_fmac_f32_e32 v23, 0xbf737871, v26
	v_sub_f32_e32 v27, v31, v27
	v_sub_f32_e32 v31, v43, v47
	v_add_f32_e32 v41, v35, v37
	v_fmac_f32_e32 v22, 0x3f167918, v30
	v_fmamk_f32 v40, v30, 0xbf737871, v3
	v_fmac_f32_e32 v23, 0xbf167918, v30
	v_add_f32_e32 v27, v27, v31
	v_fmac_f32_e32 v3, 0x3f737871, v30
	v_add_f32_e32 v30, v5, v33
	v_fma_f32 v31, -0.5, v41, v5
	v_sub_f32_e32 v32, v32, v38
	v_add_f32_e32 v38, v33, v39
	v_fmac_f32_e32 v22, 0x3e9e377a, v7
	v_fmac_f32_e32 v40, 0x3f167918, v26
	;; [unrolled: 1-line block ×4, first 2 shown]
	v_add_f32_e32 v7, v30, v35
	v_fmamk_f32 v26, v32, 0x3f737871, v31
	v_sub_f32_e32 v30, v34, v36
	v_sub_f32_e32 v34, v33, v35
	;; [unrolled: 1-line block ×3, first 2 shown]
	v_fmac_f32_e32 v31, 0xbf737871, v32
	v_fmac_f32_e32 v5, -0.5, v38
	v_fmac_f32_e32 v40, 0x3e9e377a, v27
	v_fmac_f32_e32 v26, 0x3f167918, v30
	v_add_f32_e32 v34, v34, v36
	v_fmac_f32_e32 v31, 0xbf167918, v30
	v_fmac_f32_e32 v3, 0x3e9e377a, v27
	v_fmamk_f32 v27, v30, 0xbf737871, v5
	v_fmac_f32_e32 v5, 0x3f737871, v30
	v_fmac_f32_e32 v26, 0x3e9e377a, v34
	;; [unrolled: 1-line block ×3, first 2 shown]
	v_add_f32_e32 v34, v53, v51
	v_sub_f32_e32 v33, v35, v33
	v_sub_f32_e32 v35, v37, v39
	v_fmac_f32_e32 v27, 0x3f167918, v32
	v_fmac_f32_e32 v5, 0xbf167918, v32
	v_add_f32_e32 v32, v45, v49
	v_add_f32_e32 v6, v6, v43
	;; [unrolled: 1-line block ×3, first 2 shown]
	v_fma_f32 v43, -0.5, v34, v9
	v_sub_f32_e32 v34, v48, v44
	v_add_f32_e32 v33, v33, v35
	v_sub_f32_e32 v35, v50, v52
	v_fmac_f32_e32 v9, -0.5, v32
	v_add_f32_e32 v6, v6, v47
	v_add_f32_e32 v7, v7, v37
	;; [unrolled: 1-line block ×3, first 2 shown]
	v_fmamk_f32 v46, v34, 0x3f737871, v43
	v_fmac_f32_e32 v27, 0x3e9e377a, v33
	v_fmac_f32_e32 v5, 0x3e9e377a, v33
	v_sub_f32_e32 v32, v49, v51
	v_sub_f32_e32 v33, v45, v53
	v_fmac_f32_e32 v43, 0xbf737871, v34
	v_fmamk_f32 v47, v35, 0xbf737871, v9
	v_sub_f32_e32 v36, v51, v49
	v_sub_f32_e32 v37, v53, v45
	v_fmac_f32_e32 v9, 0x3f737871, v35
	v_add_f32_e32 v30, v53, v30
	v_fmac_f32_e32 v46, 0x3f167918, v35
	v_add_f32_e32 v32, v33, v32
	v_fmac_f32_e32 v43, 0xbf167918, v35
	v_fmac_f32_e32 v47, 0x3f167918, v34
	v_add_f32_e32 v33, v37, v36
	v_fmac_f32_e32 v9, 0xbf167918, v34
	v_sub_nc_u32_e32 v2, 0, v2
	v_sub_nc_u32_e32 v4, 0, v4
	v_add_f32_e32 v36, v45, v30
	v_fmac_f32_e32 v46, 0x3e9e377a, v32
	v_fmac_f32_e32 v43, 0x3e9e377a, v32
	;; [unrolled: 1-line block ×4, first 2 shown]
	v_add_nc_u32_e32 v37, 0x177, v55
	v_add_f32_e32 v7, v7, v39
	s_waitcnt lgkmcnt(0)
	s_barrier
	buffer_gl0_inv
	ds_write2_b32 v66, v68, v71 offset1:1
	ds_write2_b32 v66, v25, v1 offset0:2 offset1:3
	ds_write_b32 v66, v24 offset:16
	ds_write2_b32 v67, v6, v22 offset1:1
	ds_write2_b32 v67, v40, v3 offset0:2 offset1:3
	ds_write_b32 v67, v23 offset:16
	;; [unrolled: 3-line block ×3, first 2 shown]
	s_and_saveexec_b32 s1, s0
	s_cbranch_execz .LBB0_21
; %bb.20:
	v_mad_u32_u24 v1, v37, 20, 0
	ds_write2_b32 v1, v36, v46 offset1:1
	ds_write2_b32 v1, v47, v9 offset0:2 offset1:3
	ds_write_b32 v1, v43 offset:16
.LBB0_21:
	s_or_b32 exec_lo, exec_lo, s1
	v_add_nc_u32_e32 v1, 0x600, v58
	v_add_nc_u32_e32 v3, 0xa00, v58
	;; [unrolled: 1-line block ×3, first 2 shown]
	s_waitcnt lgkmcnt(0)
	s_barrier
	buffer_gl0_inv
	ds_read2_b32 v[34:35], v1 offset0:16 offset1:141
	v_add_nc_u32_e32 v1, 0x1600, v58
	ds_read2_b32 v[30:31], v3 offset0:10 offset1:160
	ds_read2_b32 v[22:23], v5 offset0:48 offset1:173
	v_add_nc_u32_e32 v3, 0xe00, v58
	v_add_nc_u32_e32 v5, 0x1a00, v58
	;; [unrolled: 1-line block ×4, first 2 shown]
	ds_read2_b32 v[24:25], v1 offset0:42 offset1:192
	ds_read2_b32 v[32:33], v3 offset0:29 offset1:154
	;; [unrolled: 1-line block ×3, first 2 shown]
	ds_read_b32 v42, v58
	ds_read_b32 v41, v44
	;; [unrolled: 1-line block ×3, first 2 shown]
	s_and_saveexec_b32 s1, s0
	s_cbranch_execz .LBB0_23
; %bb.22:
	ds_read_b32 v36, v58 offset:1500
	ds_read_b32 v46, v58 offset:3100
	;; [unrolled: 1-line block ×5, first 2 shown]
.LBB0_23:
	s_or_b32 exec_lo, exec_lo, s1
	v_and_b32_e32 v38, 0xff, v55
	v_and_b32_e32 v39, 0xff, v57
	v_mov_b32_e32 v48, 0xcccd
	v_mov_b32_e32 v51, 5
	v_mul_lo_u16 v0, 0xcd, v38
	v_mul_lo_u16 v1, 0xcd, v39
	v_lshrrev_b16 v49, 10, v0
	v_mul_u32_u24_sdwa v0, v56, v48 dst_sel:DWORD dst_unused:UNUSED_PAD src0_sel:WORD_0 src1_sel:DWORD
	v_lshrrev_b16 v50, 10, v1
	v_mul_u32_u24_sdwa v48, v37, v48 dst_sel:DWORD dst_unused:UNUSED_PAD src0_sel:WORD_0 src1_sel:DWORD
	v_mul_lo_u16 v1, v49, 5
	v_lshrrev_b32_e32 v52, 18, v0
	v_mul_lo_u16 v0, v50, 5
	v_lshrrev_b32_e32 v71, 18, v48
	v_sub_nc_u16 v66, v55, v1
	v_mul_lo_u16 v1, v52, 5
	v_sub_nc_u16 v67, v57, v0
	v_mul_lo_u16 v48, v71, 5
	v_lshlrev_b32_sdwa v53, v51, v66 dst_sel:DWORD dst_unused:UNUSED_PAD src0_sel:DWORD src1_sel:BYTE_0
	v_sub_nc_u16 v68, v56, v1
	v_lshlrev_b32_sdwa v69, v51, v67 dst_sel:DWORD dst_unused:UNUSED_PAD src0_sel:DWORD src1_sel:BYTE_0
	v_sub_nc_u16 v48, v37, v48
	s_clause 0x1
	global_load_dwordx4 v[4:7], v53, s[8:9]
	global_load_dwordx4 v[85:88], v53, s[8:9] offset:16
	v_lshlrev_b32_sdwa v70, v51, v68 dst_sel:DWORD dst_unused:UNUSED_PAD src0_sel:DWORD src1_sel:WORD_0
	s_clause 0x1
	global_load_dwordx4 v[0:3], v69, s[8:9]
	global_load_dwordx4 v[89:92], v69, s[8:9] offset:16
	v_lshlrev_b32_sdwa v51, v51, v48 dst_sel:DWORD dst_unused:UNUSED_PAD src0_sel:DWORD src1_sel:WORD_0
	v_mov_b32_e32 v53, 2
	s_clause 0x3
	global_load_dwordx4 v[81:84], v70, s[8:9]
	global_load_dwordx4 v[93:96], v70, s[8:9] offset:16
	global_load_dwordx4 v[97:100], v51, s[8:9]
	global_load_dwordx4 v[101:104], v51, s[8:9] offset:16
	v_mov_b32_e32 v51, 0x64
	v_mul_u32_u24_e32 v70, 0x64, v52
	s_waitcnt vmcnt(0) lgkmcnt(0)
	s_barrier
	buffer_gl0_inv
	v_mul_u32_u24_sdwa v69, v49, v51 dst_sel:DWORD dst_unused:UNUSED_PAD src0_sel:WORD_0 src1_sel:DWORD
	v_mul_u32_u24_sdwa v50, v50, v51 dst_sel:DWORD dst_unused:UNUSED_PAD src0_sel:WORD_0 src1_sel:DWORD
	v_lshlrev_b32_sdwa v51, v53, v66 dst_sel:DWORD dst_unused:UNUSED_PAD src0_sel:DWORD src1_sel:BYTE_0
	v_lshlrev_b32_sdwa v66, v53, v67 dst_sel:DWORD dst_unused:UNUSED_PAD src0_sel:DWORD src1_sel:BYTE_0
	v_lshlrev_b32_sdwa v67, v53, v68 dst_sel:DWORD dst_unused:UNUSED_PAD src0_sel:DWORD src1_sel:WORD_0
	v_mul_lo_u16 v49, v71, 25
	v_add3_u32 v52, 0, v69, v51
	v_add3_u32 v51, 0, v50, v66
	;; [unrolled: 1-line block ×3, first 2 shown]
	v_mul_f32_e32 v77, v34, v5
	v_mul_f32_e32 v5, v20, v5
	;; [unrolled: 1-line block ×12, first 2 shown]
	v_fmac_f32_e32 v77, v20, v4
	v_mul_f32_e32 v79, v22, v86
	v_mul_f32_e32 v82, v25, v88
	;; [unrolled: 1-line block ×4, first 2 shown]
	v_fmac_f32_e32 v68, v16, v2
	v_fmac_f32_e32 v67, v18, v81
	v_mul_f32_e32 v18, v46, v98
	v_mul_f32_e32 v16, v47, v100
	v_fmac_f32_e32 v66, v17, v83
	v_mul_f32_e32 v17, v9, v102
	v_mul_f32_e32 v20, v43, v104
	v_fma_f32 v75, v34, v4, -v5
	v_fmac_f32_e32 v78, v19, v6
	v_fma_f32 v76, v31, v6, -v7
	v_mul_f32_e32 v4, v14, v86
	v_mul_f32_e32 v5, v11, v88
	v_fmac_f32_e32 v72, v21, v0
	v_mul_f32_e32 v6, v15, v90
	v_fma_f32 v69, v35, v0, -v1
	v_mul_f32_e32 v0, v12, v92
	v_fma_f32 v70, v32, v2, -v3
	v_mul_f32_e32 v34, v24, v94
	v_mul_f32_e32 v1, v10, v94
	;; [unrolled: 1-line block ×4, first 2 shown]
	v_fma_f32 v19, v30, v81, -v73
	v_mul_f32_e32 v7, v65, v100
	v_mul_f32_e32 v30, v8, v102
	;; [unrolled: 1-line block ×3, first 2 shown]
	v_fmac_f32_e32 v79, v14, v85
	v_fmac_f32_e32 v82, v11, v87
	v_fmac_f32_e32 v71, v15, v89
	v_fmac_f32_e32 v74, v12, v91
	v_fmac_f32_e32 v18, v64, v97
	v_fmac_f32_e32 v16, v65, v99
	v_fmac_f32_e32 v17, v8, v101
	v_fmac_f32_e32 v20, v63, v103
	v_mul_f32_e32 v2, v13, v96
	v_fma_f32 v21, v33, v83, -v80
	v_fma_f32 v80, v22, v85, -v4
	;; [unrolled: 1-line block ×5, first 2 shown]
	v_fmac_f32_e32 v34, v10, v93
	v_fma_f32 v22, v24, v93, -v1
	v_fmac_f32_e32 v35, v13, v95
	v_fma_f32 v13, v46, v97, -v3
	v_fma_f32 v14, v47, v99, -v7
	;; [unrolled: 1-line block ×4, first 2 shown]
	v_add_f32_e32 v1, v78, v79
	v_add_f32_e32 v6, v77, v82
	v_sub_f32_e32 v24, v72, v68
	v_sub_f32_e32 v26, v74, v71
	v_add_f32_e32 v83, v16, v17
	v_add_f32_e32 v86, v18, v20
	v_sub_f32_e32 v4, v77, v78
	v_sub_f32_e32 v5, v82, v79
	;; [unrolled: 1-line block ×4, first 2 shown]
	v_add_f32_e32 v10, v68, v71
	v_fma_f32 v23, v27, v95, -v2
	v_add_f32_e32 v27, v72, v74
	v_add_f32_e32 v0, v62, v77
	v_sub_f32_e32 v2, v75, v81
	v_sub_f32_e32 v30, v68, v72
	;; [unrolled: 1-line block ×3, first 2 shown]
	v_add_f32_e32 v32, v60, v67
	v_add_f32_e32 v33, v66, v34
	;; [unrolled: 1-line block ×4, first 2 shown]
	v_sub_f32_e32 v92, v13, v12
	v_sub_f32_e32 v93, v14, v15
	v_fma_f32 v1, -0.5, v1, v62
	v_fmac_f32_e32 v62, -0.5, v6
	v_add_f32_e32 v6, v24, v26
	v_fma_f32 v26, -0.5, v83, v59
	v_fmac_f32_e32 v59, -0.5, v86
	v_sub_f32_e32 v3, v76, v80
	v_sub_f32_e32 v63, v66, v67
	;; [unrolled: 1-line block ×3, first 2 shown]
	v_add_f32_e32 v9, v61, v72
	v_sub_f32_e32 v11, v69, v73
	v_add_f32_e32 v4, v4, v5
	v_add_f32_e32 v5, v7, v8
	v_fma_f32 v7, -0.5, v10, v61
	v_sub_f32_e32 v89, v70, v25
	v_fmac_f32_e32 v61, -0.5, v27
	v_sub_f32_e32 v43, v67, v66
	v_sub_f32_e32 v46, v35, v34
	;; [unrolled: 1-line block ×8, first 2 shown]
	v_add_f32_e32 v8, v30, v31
	v_fma_f32 v31, -0.5, v33, v60
	v_fmac_f32_e32 v60, -0.5, v47
	v_add_f32_e32 v0, v0, v78
	v_add_f32_e32 v24, v32, v66
	;; [unrolled: 1-line block ×3, first 2 shown]
	v_fmamk_f32 v47, v2, 0xbf737871, v1
	v_fmamk_f32 v27, v92, 0xbf737871, v26
	v_fmac_f32_e32 v26, 0x3f737871, v92
	v_fmamk_f32 v30, v93, 0x3f737871, v59
	v_fmac_f32_e32 v59, 0xbf737871, v93
	v_add_f32_e32 v33, v63, v64
	v_fmamk_f32 v63, v3, 0x3f737871, v62
	v_fmac_f32_e32 v62, 0xbf737871, v3
	v_fmac_f32_e32 v1, 0x3f737871, v2
	v_add_f32_e32 v9, v9, v68
	v_fmamk_f32 v64, v11, 0xbf737871, v7
	v_fmamk_f32 v65, v89, 0x3f737871, v61
	v_fmac_f32_e32 v61, 0xbf737871, v89
	v_add_f32_e32 v10, v43, v46
	v_add_f32_e32 v43, v84, v85
	;; [unrolled: 1-line block ×3, first 2 shown]
	v_fmac_f32_e32 v7, 0x3f737871, v11
	v_fmamk_f32 v83, v90, 0xbf737871, v31
	v_fmac_f32_e32 v31, 0x3f737871, v90
	v_fmamk_f32 v84, v91, 0x3f737871, v60
	v_fmac_f32_e32 v60, 0xbf737871, v91
	v_add_f32_e32 v0, v0, v79
	v_add_f32_e32 v24, v24, v34
	;; [unrolled: 1-line block ×3, first 2 shown]
	v_fmac_f32_e32 v47, 0xbf167918, v3
	v_fmac_f32_e32 v27, 0xbf167918, v93
	;; [unrolled: 1-line block ×8, first 2 shown]
	v_add_f32_e32 v9, v9, v71
	v_fmac_f32_e32 v64, 0xbf167918, v89
	v_fmac_f32_e32 v65, 0xbf167918, v11
	;; [unrolled: 1-line block ×8, first 2 shown]
	v_add_f32_e32 v0, v0, v82
	v_add_f32_e32 v3, v24, v35
	;; [unrolled: 1-line block ×3, first 2 shown]
	v_fmac_f32_e32 v47, 0x3e9e377a, v4
	v_fmac_f32_e32 v27, 0x3e9e377a, v43
	;; [unrolled: 1-line block ×8, first 2 shown]
	v_add_f32_e32 v2, v9, v74
	v_fmac_f32_e32 v64, 0x3e9e377a, v6
	v_fmac_f32_e32 v65, 0x3e9e377a, v8
	;; [unrolled: 1-line block ×8, first 2 shown]
	ds_write2_b32 v52, v0, v47 offset1:5
	ds_write2_b32 v52, v63, v62 offset0:10 offset1:15
	ds_write_b32 v52, v1 offset:80
	ds_write2_b32 v51, v2, v64 offset1:5
	ds_write2_b32 v51, v65, v61 offset0:10 offset1:15
	ds_write_b32 v51, v7 offset:80
	;; [unrolled: 3-line block ×3, first 2 shown]
	s_and_saveexec_b32 s1, s0
	s_cbranch_execz .LBB0_25
; %bb.24:
	v_lshlrev_b32_sdwa v0, v53, v48 dst_sel:DWORD dst_unused:UNUSED_PAD src0_sel:DWORD src1_sel:WORD_0
	v_lshlrev_b32_sdwa v1, v53, v49 dst_sel:DWORD dst_unused:UNUSED_PAD src0_sel:DWORD src1_sel:WORD_0
	v_add3_u32 v0, 0, v0, v1
	ds_write2_b32 v0, v24, v27 offset1:5
	ds_write2_b32 v0, v30, v59 offset0:10 offset1:15
	ds_write_b32 v0, v26 offset:80
.LBB0_25:
	s_or_b32 exec_lo, exec_lo, s1
	v_add_nc_u32_e32 v0, 0x600, v58
	v_add_nc_u32_e32 v1, 0xa00, v58
	s_waitcnt lgkmcnt(0)
	s_barrier
	buffer_gl0_inv
	ds_read2_b32 v[8:9], v0 offset0:16 offset1:141
	v_add_nc_u32_e32 v0, 0x1200, v58
	v_add_nc_u32_e32 v2, 0x1600, v58
	;; [unrolled: 1-line block ×4, first 2 shown]
	ds_read2_b32 v[4:5], v1 offset0:10 offset1:160
	ds_read2_b32 v[10:11], v0 offset0:48 offset1:173
	;; [unrolled: 1-line block ×5, first 2 shown]
	ds_read_b32 v33, v58
	ds_read_b32 v32, v44
	;; [unrolled: 1-line block ×3, first 2 shown]
	v_lshl_add_u32 v46, v55, 2, 0
	s_and_saveexec_b32 s1, s0
	s_cbranch_execz .LBB0_27
; %bb.26:
	ds_read_b32 v27, v58 offset:3100
	ds_read_b32 v30, v58 offset:4700
	;; [unrolled: 1-line block ×5, first 2 shown]
.LBB0_27:
	s_or_b32 exec_lo, exec_lo, s1
	v_add_f32_e32 v43, v76, v80
	v_add_f32_e32 v47, v42, v75
	v_sub_f32_e32 v53, v77, v82
	v_sub_f32_e32 v60, v78, v79
	v_sub_f32_e32 v61, v75, v76
	v_fma_f32 v43, -0.5, v43, v42
	v_add_f32_e32 v47, v47, v76
	v_sub_f32_e32 v62, v81, v80
	v_add_f32_e32 v63, v75, v81
	v_sub_f32_e32 v64, v76, v75
	v_fmamk_f32 v65, v53, 0x3f737871, v43
	v_add_f32_e32 v47, v47, v80
	v_fmac_f32_e32 v43, 0xbf737871, v53
	v_add_f32_e32 v61, v61, v62
	v_fmac_f32_e32 v42, -0.5, v63
	v_fmac_f32_e32 v65, 0x3f167918, v60
	v_sub_f32_e32 v62, v80, v81
	v_add_f32_e32 v75, v47, v81
	v_fmac_f32_e32 v43, 0xbf167918, v60
	v_add_f32_e32 v47, v41, v69
	v_add_f32_e32 v76, v70, v25
	v_fmamk_f32 v63, v60, 0xbf737871, v42
	v_fmac_f32_e32 v65, 0x3e9e377a, v61
	v_add_f32_e32 v62, v64, v62
	v_fmac_f32_e32 v42, 0x3f737871, v60
	v_add_f32_e32 v47, v47, v70
	v_fma_f32 v60, -0.5, v76, v41
	v_sub_f32_e32 v64, v72, v74
	v_fmac_f32_e32 v43, 0x3e9e377a, v61
	v_add_f32_e32 v61, v69, v73
	v_fmac_f32_e32 v63, 0x3f167918, v53
	v_fmac_f32_e32 v42, 0xbf167918, v53
	v_add_f32_e32 v47, v47, v25
	v_fmamk_f32 v53, v64, 0x3f737871, v60
	v_sub_f32_e32 v68, v68, v71
	v_sub_f32_e32 v71, v69, v70
	;; [unrolled: 1-line block ×3, first 2 shown]
	v_fmac_f32_e32 v41, -0.5, v61
	v_fmac_f32_e32 v60, 0xbf737871, v64
	v_sub_f32_e32 v69, v70, v69
	v_sub_f32_e32 v25, v25, v73
	v_add_f32_e32 v70, v21, v22
	v_fmac_f32_e32 v63, 0x3e9e377a, v62
	v_fmac_f32_e32 v42, 0x3e9e377a, v62
	v_add_f32_e32 v61, v47, v73
	v_fmac_f32_e32 v53, 0x3f167918, v68
	v_add_f32_e32 v47, v71, v72
	v_fmamk_f32 v62, v68, 0xbf737871, v41
	v_fmac_f32_e32 v60, 0xbf167918, v68
	v_add_f32_e32 v25, v69, v25
	v_fmac_f32_e32 v41, 0x3f737871, v68
	v_add_f32_e32 v68, v40, v19
	v_fma_f32 v69, -0.5, v70, v40
	v_sub_f32_e32 v35, v67, v35
	v_fmac_f32_e32 v53, 0x3e9e377a, v47
	v_fmac_f32_e32 v62, 0x3f167918, v64
	;; [unrolled: 1-line block ×4, first 2 shown]
	v_add_f32_e32 v47, v68, v21
	v_fmamk_f32 v64, v35, 0x3f737871, v69
	v_sub_f32_e32 v34, v66, v34
	v_sub_f32_e32 v66, v19, v21
	;; [unrolled: 1-line block ×3, first 2 shown]
	v_fmac_f32_e32 v69, 0xbf737871, v35
	v_add_f32_e32 v68, v19, v23
	v_fmac_f32_e32 v64, 0x3f167918, v34
	v_sub_f32_e32 v19, v21, v19
	v_add_f32_e32 v66, v66, v67
	v_fmac_f32_e32 v69, 0xbf167918, v34
	v_fmac_f32_e32 v40, -0.5, v68
	v_sub_f32_e32 v21, v22, v23
	v_fmac_f32_e32 v62, 0x3e9e377a, v25
	v_add_f32_e32 v47, v47, v22
	v_fmac_f32_e32 v41, 0x3e9e377a, v25
	v_fmac_f32_e32 v64, 0x3e9e377a, v66
	;; [unrolled: 1-line block ×3, first 2 shown]
	v_fmamk_f32 v66, v34, 0xbf737871, v40
	v_add_f32_e32 v25, v14, v15
	v_fmac_f32_e32 v40, 0x3f737871, v34
	v_add_f32_e32 v22, v36, v13
	v_add_f32_e32 v19, v19, v21
	;; [unrolled: 1-line block ×3, first 2 shown]
	v_fma_f32 v34, -0.5, v25, v36
	v_sub_f32_e32 v18, v18, v20
	v_fmac_f32_e32 v66, 0x3f167918, v35
	v_fmac_f32_e32 v40, 0xbf167918, v35
	v_add_f32_e32 v20, v22, v14
	v_sub_f32_e32 v16, v16, v17
	v_fmac_f32_e32 v36, -0.5, v21
	v_add_f32_e32 v67, v47, v23
	v_fmamk_f32 v35, v18, 0x3f737871, v34
	v_fmac_f32_e32 v66, 0x3e9e377a, v19
	v_fmac_f32_e32 v40, 0x3e9e377a, v19
	v_add_f32_e32 v17, v20, v15
	v_sub_f32_e32 v19, v13, v14
	v_sub_f32_e32 v20, v12, v15
	v_fmac_f32_e32 v34, 0xbf737871, v18
	v_fmamk_f32 v47, v16, 0xbf737871, v36
	v_sub_f32_e32 v13, v14, v13
	v_sub_f32_e32 v14, v15, v12
	v_fmac_f32_e32 v36, 0x3f737871, v16
	v_fmac_f32_e32 v35, 0x3f167918, v16
	v_add_f32_e32 v15, v19, v20
	v_fmac_f32_e32 v34, 0xbf167918, v16
	v_fmac_f32_e32 v47, 0x3f167918, v18
	v_add_f32_e32 v13, v13, v14
	v_fmac_f32_e32 v36, 0xbf167918, v18
	v_add_f32_e32 v25, v17, v12
	v_fmac_f32_e32 v35, 0x3e9e377a, v15
	v_fmac_f32_e32 v34, 0x3e9e377a, v15
	;; [unrolled: 1-line block ×4, first 2 shown]
	s_waitcnt lgkmcnt(0)
	s_barrier
	buffer_gl0_inv
	ds_write2_b32 v52, v75, v65 offset1:5
	ds_write2_b32 v52, v63, v42 offset0:10 offset1:15
	ds_write_b32 v52, v43 offset:80
	ds_write2_b32 v51, v61, v53 offset1:5
	ds_write2_b32 v51, v62, v41 offset0:10 offset1:15
	ds_write_b32 v51, v60 offset:80
	;; [unrolled: 3-line block ×3, first 2 shown]
	s_and_saveexec_b32 s1, s0
	s_cbranch_execz .LBB0_29
; %bb.28:
	v_mov_b32_e32 v12, 2
	v_lshlrev_b32_sdwa v13, v12, v48 dst_sel:DWORD dst_unused:UNUSED_PAD src0_sel:DWORD src1_sel:WORD_0
	v_lshlrev_b32_sdwa v12, v12, v49 dst_sel:DWORD dst_unused:UNUSED_PAD src0_sel:DWORD src1_sel:WORD_0
	v_add3_u32 v12, 0, v13, v12
	ds_write2_b32 v12, v25, v35 offset1:5
	ds_write2_b32 v12, v47, v36 offset0:10 offset1:15
	ds_write_b32 v12, v34 offset:80
.LBB0_29:
	s_or_b32 exec_lo, exec_lo, s1
	v_add_nc_u32_e32 v12, 0x600, v58
	v_add_nc_u32_e32 v13, 0xa00, v58
	s_waitcnt lgkmcnt(0)
	s_barrier
	buffer_gl0_inv
	ds_read2_b32 v[20:21], v12 offset0:16 offset1:141
	v_add_nc_u32_e32 v12, 0x1200, v58
	v_add_nc_u32_e32 v14, 0x1600, v58
	v_add_nc_u32_e32 v15, 0xe00, v58
	v_add_nc_u32_e32 v40, 0x1a00, v58
	ds_read2_b32 v[16:17], v13 offset0:10 offset1:160
	ds_read2_b32 v[22:23], v12 offset0:48 offset1:173
	ds_read2_b32 v[12:13], v14 offset0:42 offset1:192
	ds_read2_b32 v[18:19], v15 offset0:29 offset1:154
	ds_read2_b32 v[14:15], v40 offset0:61 offset1:186
	ds_read_b32 v51, v58
	ds_read_b32 v43, v44
	;; [unrolled: 1-line block ×3, first 2 shown]
	s_and_saveexec_b32 s1, s0
	s_cbranch_execz .LBB0_31
; %bb.30:
	ds_read_b32 v35, v58 offset:3100
	ds_read_b32 v47, v58 offset:4700
	;; [unrolled: 1-line block ×5, first 2 shown]
.LBB0_31:
	s_or_b32 exec_lo, exec_lo, s1
	v_mul_lo_u16 v38, v38, 41
	v_mul_lo_u16 v39, v39, 41
	v_mov_b32_e32 v41, 5
	v_lshrrev_b16 v38, 10, v38
	v_lshrrev_b16 v39, 10, v39
	v_mul_lo_u16 v40, v38, 25
	v_mul_lo_u16 v48, v39, 25
	v_sub_nc_u16 v40, v55, v40
	v_sub_nc_u16 v48, v57, v48
	v_lshlrev_b32_sdwa v49, v41, v40 dst_sel:DWORD dst_unused:UNUSED_PAD src0_sel:DWORD src1_sel:BYTE_0
	v_lshlrev_b32_sdwa v50, v41, v48 dst_sel:DWORD dst_unused:UNUSED_PAD src0_sel:DWORD src1_sel:BYTE_0
	s_clause 0x3
	global_load_dwordx4 v[63:66], v49, s[8:9] offset:160
	global_load_dwordx4 v[67:70], v49, s[8:9] offset:176
	;; [unrolled: 1-line block ×4, first 2 shown]
	v_mov_b32_e32 v49, 0x47af
	v_mul_u32_u24_sdwa v50, v56, v49 dst_sel:DWORD dst_unused:UNUSED_PAD src0_sel:WORD_0 src1_sel:DWORD
	v_mul_u32_u24_sdwa v49, v37, v49 dst_sel:DWORD dst_unused:UNUSED_PAD src0_sel:WORD_0 src1_sel:DWORD
	v_lshrrev_b32_e32 v50, 16, v50
	v_lshrrev_b32_e32 v49, 16, v49
	v_sub_nc_u16 v52, v56, v50
	v_sub_nc_u16 v53, v37, v49
	v_lshrrev_b16 v52, 1, v52
	v_lshrrev_b16 v53, 1, v53
	v_add_nc_u16 v50, v52, v50
	v_add_nc_u16 v49, v53, v49
	v_lshrrev_b16 v50, 4, v50
	v_lshrrev_b16 v49, 4, v49
	v_mul_lo_u16 v52, v50, 25
	v_sub_nc_u16 v52, v56, v52
	v_lshlrev_b32_sdwa v41, v41, v52 dst_sel:DWORD dst_unused:UNUSED_PAD src0_sel:DWORD src1_sel:WORD_0
	s_clause 0x1
	global_load_dwordx4 v[79:82], v41, s[8:9] offset:160
	global_load_dwordx4 v[83:86], v41, s[8:9] offset:176
	v_mul_lo_u16 v41, v49, 25
	v_mov_b32_e32 v49, 2
	v_sub_nc_u16 v37, v37, v41
	v_lshlrev_b32_sdwa v40, v49, v40 dst_sel:DWORD dst_unused:UNUSED_PAD src0_sel:DWORD src1_sel:BYTE_0
	v_lshlrev_b32_sdwa v48, v49, v48 dst_sel:DWORD dst_unused:UNUSED_PAD src0_sel:DWORD src1_sel:BYTE_0
	v_lshlrev_b32_sdwa v49, v49, v52 dst_sel:DWORD dst_unused:UNUSED_PAD src0_sel:DWORD src1_sel:WORD_0
	v_and_b32_e32 v37, 0xffff, v37
	v_lshlrev_b32_e32 v41, 5, v37
	s_clause 0x1
	global_load_dwordx4 v[87:90], v41, s[8:9] offset:160
	global_load_dwordx4 v[91:94], v41, s[8:9] offset:176
	v_mov_b32_e32 v41, 0x1f4
	v_lshl_add_u32 v52, v37, 2, 0
	s_waitcnt vmcnt(0) lgkmcnt(0)
	s_barrier
	buffer_gl0_inv
	v_mul_u32_u24_sdwa v38, v38, v41 dst_sel:DWORD dst_unused:UNUSED_PAD src0_sel:WORD_0 src1_sel:DWORD
	v_mul_u32_u24_sdwa v39, v39, v41 dst_sel:DWORD dst_unused:UNUSED_PAD src0_sel:WORD_0 src1_sel:DWORD
	v_mul_u32_u24_sdwa v41, v50, v41 dst_sel:DWORD dst_unused:UNUSED_PAD src0_sel:WORD_0 src1_sel:DWORD
	v_add3_u32 v57, 0, v38, v40
	v_add3_u32 v56, 0, v39, v48
	;; [unrolled: 1-line block ×3, first 2 shown]
	v_mul_f32_e32 v61, v22, v68
	v_mul_f32_e32 v50, v20, v64
	;; [unrolled: 1-line block ×16, first 2 shown]
	v_fmac_f32_e32 v50, v8, v63
	v_fmac_f32_e32 v60, v5, v65
	;; [unrolled: 1-line block ×7, first 2 shown]
	v_fma_f32 v48, v20, v63, -v41
	v_fma_f32 v49, v17, v65, -v49
	;; [unrolled: 1-line block ×7, first 2 shown]
	v_fmac_f32_e32 v40, v2, v77
	v_fma_f32 v18, v14, v77, -v74
	v_add_f32_e32 v2, v60, v61
	v_sub_f32_e32 v8, v50, v60
	v_sub_f32_e32 v10, v62, v61
	v_add_f32_e32 v21, v32, v38
	v_add_f32_e32 v23, v37, v39
	v_add_f32_e32 v11, v50, v62
	v_sub_f32_e32 v14, v60, v50
	v_sub_f32_e32 v20, v61, v62
	;; [unrolled: 1-line block ×5, first 2 shown]
	v_add_f32_e32 v67, v38, v40
	v_sub_f32_e32 v68, v37, v38
	v_sub_f32_e32 v69, v39, v40
	v_fma_f32 v70, -0.5, v2, v33
	v_add_f32_e32 v2, v8, v10
	v_add_f32_e32 v8, v21, v37
	v_fma_f32 v21, -0.5, v23, v32
	v_add_f32_e32 v1, v33, v50
	v_sub_f32_e32 v5, v48, v22
	v_sub_f32_e32 v6, v49, v41
	;; [unrolled: 1-line block ×3, first 2 shown]
	v_fmac_f32_e32 v33, -0.5, v11
	v_add_f32_e32 v71, v14, v20
	v_add_f32_e32 v23, v65, v66
	v_fmac_f32_e32 v32, -0.5, v67
	v_add_f32_e32 v65, v68, v69
	v_fmamk_f32 v68, v63, 0xbf737871, v21
	v_fmac_f32_e32 v21, 0x3f737871, v63
	v_mul_f32_e32 v10, v19, v82
	v_mul_f32_e32 v14, v12, v84
	v_add_f32_e32 v1, v1, v60
	v_mul_f32_e32 v11, v16, v80
	v_mul_f32_e32 v20, v15, v86
	v_fmamk_f32 v66, v5, 0xbf737871, v70
	v_fmac_f32_e32 v70, 0x3f737871, v5
	v_fmamk_f32 v67, v6, 0x3f737871, v33
	v_fmac_f32_e32 v33, 0xbf737871, v6
	v_add_f32_e32 v8, v8, v39
	v_fmamk_f32 v69, v64, 0x3f737871, v32
	v_fmac_f32_e32 v32, 0xbf737871, v64
	v_mul_f32_e32 v72, v4, v80
	v_mul_f32_e32 v75, v3, v86
	v_fmac_f32_e32 v68, 0xbf167918, v64
	v_fmac_f32_e32 v21, 0x3f167918, v64
	;; [unrolled: 1-line block ×4, first 2 shown]
	v_add_f32_e32 v1, v1, v61
	v_mul_f32_e32 v73, v7, v82
	v_mul_f32_e32 v74, v0, v84
	v_fmac_f32_e32 v11, v4, v79
	v_fmac_f32_e32 v20, v3, v85
	v_mul_f32_e32 v0, v27, v88
	v_fmac_f32_e32 v66, 0xbf167918, v6
	v_fmac_f32_e32 v70, 0x3f167918, v6
	;; [unrolled: 1-line block ×4, first 2 shown]
	v_add_f32_e32 v77, v8, v40
	v_fmac_f32_e32 v69, 0xbf167918, v63
	v_fmac_f32_e32 v32, 0x3f167918, v63
	v_fma_f32 v16, v16, v79, -v72
	v_fma_f32 v8, v15, v85, -v75
	v_mul_f32_e32 v5, v47, v90
	v_mul_f32_e32 v3, v30, v90
	;; [unrolled: 1-line block ×5, first 2 shown]
	v_fmac_f32_e32 v68, 0x3e9e377a, v23
	v_fmac_f32_e32 v21, 0x3e9e377a, v23
	v_add_f32_e32 v23, v10, v14
	v_add_f32_e32 v76, v1, v62
	v_fma_f32 v19, v19, v81, -v73
	v_fma_f32 v12, v12, v83, -v74
	v_mul_f32_e32 v4, v35, v88
	v_fma_f32 v1, v35, v87, -v0
	v_add_f32_e32 v35, v11, v20
	v_fmac_f32_e32 v66, 0x3e9e377a, v2
	v_fmac_f32_e32 v70, 0x3e9e377a, v2
	;; [unrolled: 1-line block ×3, first 2 shown]
	v_fma_f32 v2, v47, v89, -v3
	v_fma_f32 v3, v36, v91, -v15
	v_fmac_f32_e32 v7, v26, v93
	v_fma_f32 v0, v34, v93, -v63
	v_add_f32_e32 v15, v31, v11
	v_sub_f32_e32 v26, v16, v8
	v_sub_f32_e32 v30, v11, v10
	;; [unrolled: 1-line block ×3, first 2 shown]
	v_fma_f32 v23, -0.5, v23, v31
	v_fmac_f32_e32 v4, v27, v87
	v_sub_f32_e32 v27, v19, v12
	v_fmac_f32_e32 v31, -0.5, v35
	v_add_f32_e32 v15, v15, v10
	v_add_f32_e32 v30, v30, v34
	v_fmamk_f32 v34, v26, 0xbf737871, v23
	v_mul_f32_e32 v6, v36, v92
	v_sub_f32_e32 v36, v10, v11
	v_sub_f32_e32 v47, v14, v20
	v_fmamk_f32 v35, v27, 0x3f737871, v31
	v_fmac_f32_e32 v31, 0xbf737871, v27
	v_fmac_f32_e32 v67, 0x3e9e377a, v71
	;; [unrolled: 1-line block ×4, first 2 shown]
	v_add_f32_e32 v15, v15, v14
	v_fmac_f32_e32 v34, 0xbf167918, v27
	ds_write2_b32 v57, v76, v66 offset1:25
	ds_write2_b32 v57, v67, v33 offset0:50 offset1:75
	ds_write_b32 v57, v70 offset:400
	ds_write2_b32 v56, v77, v68 offset1:25
	v_add_f32_e32 v33, v36, v47
	v_fmac_f32_e32 v35, 0xbf167918, v26
	v_fmac_f32_e32 v31, 0x3f167918, v26
	;; [unrolled: 1-line block ×6, first 2 shown]
	v_add_f32_e32 v15, v15, v20
	v_fmac_f32_e32 v34, 0x3e9e377a, v30
	v_fmac_f32_e32 v35, 0x3e9e377a, v33
	;; [unrolled: 1-line block ×4, first 2 shown]
	ds_write2_b32 v56, v69, v32 offset0:50 offset1:75
	ds_write_b32 v56, v21 offset:400
	ds_write2_b32 v53, v15, v34 offset1:25
	ds_write2_b32 v53, v35, v31 offset0:50 offset1:75
	ds_write_b32 v53, v23 offset:400
	s_and_saveexec_b32 s1, s0
	s_cbranch_execz .LBB0_33
; %bb.32:
	v_add_f32_e32 v15, v4, v7
	v_add_f32_e32 v26, v5, v6
	v_sub_f32_e32 v30, v1, v0
	v_add_f32_e32 v31, v24, v4
	v_sub_f32_e32 v21, v5, v4
	v_fma_f32 v15, -0.5, v15, v24
	v_fma_f32 v24, -0.5, v26, v24
	v_sub_f32_e32 v23, v6, v7
	v_sub_f32_e32 v27, v2, v3
	;; [unrolled: 1-line block ×4, first 2 shown]
	v_fmamk_f32 v33, v30, 0x3f737871, v24
	v_fmac_f32_e32 v24, 0xbf737871, v30
	v_add_f32_e32 v31, v31, v5
	v_add_f32_e32 v21, v21, v23
	v_fmamk_f32 v23, v27, 0xbf737871, v15
	v_fmac_f32_e32 v15, 0x3f737871, v27
	v_add_f32_e32 v26, v26, v32
	v_fmac_f32_e32 v24, 0xbf167918, v27
	v_add_f32_e32 v31, v31, v6
	v_fmac_f32_e32 v23, 0x3f167918, v30
	v_fmac_f32_e32 v15, 0xbf167918, v30
	;; [unrolled: 1-line block ×4, first 2 shown]
	v_add_f32_e32 v27, v31, v7
	v_add_nc_u32_e32 v30, 0x1c00, v52
	v_fmac_f32_e32 v23, 0x3e9e377a, v21
	v_fmac_f32_e32 v15, 0x3e9e377a, v21
	;; [unrolled: 1-line block ×3, first 2 shown]
	ds_write2_b32 v30, v27, v24 offset0:83 offset1:108
	ds_write2_b32 v30, v15, v23 offset0:133 offset1:158
	ds_write_b32 v52, v33 offset:7900
.LBB0_33:
	s_or_b32 exec_lo, exec_lo, s1
	v_add_f32_e32 v15, v49, v41
	v_add_f32_e32 v21, v51, v48
	v_sub_f32_e32 v23, v50, v62
	v_add_f32_e32 v30, v48, v22
	v_sub_f32_e32 v24, v60, v61
	v_fma_f32 v15, -0.5, v15, v51
	v_sub_f32_e32 v26, v48, v49
	v_sub_f32_e32 v27, v22, v41
	v_add_f32_e32 v21, v21, v49
	v_fmac_f32_e32 v51, -0.5, v30
	v_fmamk_f32 v59, v23, 0x3f737871, v15
	v_fmac_f32_e32 v15, 0xbf737871, v23
	v_add_f32_e32 v30, v43, v9
	v_sub_f32_e32 v31, v49, v48
	v_sub_f32_e32 v32, v41, v22
	v_add_f32_e32 v26, v26, v27
	v_add_f32_e32 v21, v21, v41
	v_fmac_f32_e32 v59, 0x3f167918, v24
	v_fmamk_f32 v27, v24, 0xbf737871, v51
	v_fmac_f32_e32 v15, 0xbf167918, v24
	v_fmac_f32_e32 v51, 0x3f737871, v24
	v_add_f32_e32 v24, v30, v13
	v_add_f32_e32 v30, v13, v17
	;; [unrolled: 1-line block ×3, first 2 shown]
	v_fmac_f32_e32 v59, 0x3e9e377a, v26
	v_fmac_f32_e32 v27, 0x3f167918, v23
	v_add_f32_e32 v22, v31, v32
	v_fmac_f32_e32 v15, 0x3e9e377a, v26
	v_fmac_f32_e32 v51, 0xbf167918, v23
	v_add_f32_e32 v23, v24, v17
	v_fma_f32 v24, -0.5, v30, v43
	v_add_f32_e32 v26, v9, v18
	v_sub_f32_e32 v30, v38, v40
	v_sub_f32_e32 v31, v9, v13
	;; [unrolled: 1-line block ×4, first 2 shown]
	v_fmac_f32_e32 v27, 0x3e9e377a, v22
	v_fmac_f32_e32 v51, 0x3e9e377a, v22
	v_add_f32_e32 v22, v23, v18
	v_sub_f32_e32 v23, v37, v39
	v_fmac_f32_e32 v43, -0.5, v26
	v_fmamk_f32 v26, v30, 0x3f737871, v24
	v_sub_f32_e32 v32, v18, v17
	v_fmac_f32_e32 v24, 0xbf737871, v30
	v_add_f32_e32 v9, v9, v13
	v_add_f32_e32 v13, v19, v12
	v_fmamk_f32 v60, v23, 0xbf737871, v43
	v_fmac_f32_e32 v26, 0x3f167918, v23
	v_add_f32_e32 v17, v31, v32
	v_fmac_f32_e32 v24, 0xbf167918, v23
	v_fmac_f32_e32 v43, 0x3f737871, v23
	v_fma_f32 v13, -0.5, v13, v42
	v_add_f32_e32 v18, v16, v8
	v_sub_f32_e32 v11, v11, v20
	v_fmac_f32_e32 v60, 0x3f167918, v30
	v_fmac_f32_e32 v26, 0x3e9e377a, v17
	;; [unrolled: 1-line block ×4, first 2 shown]
	v_add_f32_e32 v17, v42, v16
	v_sub_f32_e32 v10, v10, v14
	v_fmac_f32_e32 v42, -0.5, v18
	v_fmamk_f32 v14, v11, 0x3f737871, v13
	v_fmac_f32_e32 v13, 0xbf737871, v11
	v_fmac_f32_e32 v60, 0x3e9e377a, v9
	;; [unrolled: 1-line block ×3, first 2 shown]
	v_add_f32_e32 v9, v17, v19
	v_sub_f32_e32 v17, v16, v19
	v_sub_f32_e32 v18, v8, v12
	v_fmamk_f32 v20, v10, 0xbf737871, v42
	v_fmac_f32_e32 v14, 0x3f167918, v10
	v_fmac_f32_e32 v13, 0xbf167918, v10
	;; [unrolled: 1-line block ×3, first 2 shown]
	v_add_nc_u32_e32 v10, 0x600, v58
	s_waitcnt lgkmcnt(0)
	s_barrier
	buffer_gl0_inv
	ds_read_b32 v47, v58
	ds_read_b32 v49, v44
	;; [unrolled: 1-line block ×3, first 2 shown]
	ds_read_b32 v48, v46 offset:1500
	ds_read2_b32 v[34:35], v10 offset0:116 offset1:241
	v_add_nc_u32_e32 v10, 0xa00, v58
	v_add_f32_e32 v17, v17, v18
	v_add_nc_u32_e32 v18, 0xe00, v58
	v_sub_f32_e32 v16, v19, v16
	v_add_nc_u32_e32 v19, 0x1200, v58
	v_add_nc_u32_e32 v23, 0x1600, v58
	;; [unrolled: 1-line block ×3, first 2 shown]
	ds_read2_b32 v[38:39], v10 offset0:110 offset1:235
	ds_read2_b32 v[30:31], v18 offset0:104 offset1:229
	;; [unrolled: 1-line block ×5, first 2 shown]
	v_add_f32_e32 v9, v9, v12
	v_sub_f32_e32 v12, v12, v8
	v_fmac_f32_e32 v20, 0x3f167918, v11
	v_fmac_f32_e32 v42, 0xbf167918, v11
	;; [unrolled: 1-line block ×3, first 2 shown]
	v_add_f32_e32 v8, v9, v8
	v_add_f32_e32 v10, v16, v12
	v_fmac_f32_e32 v13, 0x3e9e377a, v17
	s_waitcnt lgkmcnt(0)
	s_barrier
	buffer_gl0_inv
	v_fmac_f32_e32 v20, 0x3e9e377a, v10
	v_fmac_f32_e32 v42, 0x3e9e377a, v10
	ds_write2_b32 v57, v21, v59 offset1:25
	ds_write2_b32 v57, v27, v51 offset0:50 offset1:75
	ds_write_b32 v57, v15 offset:400
	ds_write2_b32 v56, v22, v26 offset1:25
	ds_write2_b32 v56, v60, v43 offset0:50 offset1:75
	ds_write_b32 v56, v24 offset:400
	;; [unrolled: 3-line block ×3, first 2 shown]
	s_and_saveexec_b32 s1, s0
	s_cbranch_execz .LBB0_35
; %bb.34:
	v_add_f32_e32 v8, v2, v3
	v_add_f32_e32 v9, v25, v1
	v_sub_f32_e32 v5, v5, v6
	v_add_f32_e32 v6, v1, v0
	v_sub_f32_e32 v4, v4, v7
	v_fma_f32 v7, -0.5, v8, v25
	v_add_f32_e32 v9, v9, v2
	v_sub_f32_e32 v8, v1, v2
	v_fmac_f32_e32 v25, -0.5, v6
	v_sub_f32_e32 v10, v0, v3
	v_fmamk_f32 v6, v4, 0x3f737871, v7
	v_sub_f32_e32 v1, v2, v1
	v_sub_f32_e32 v2, v3, v0
	v_add_f32_e32 v3, v9, v3
	v_fmamk_f32 v9, v5, 0xbf737871, v25
	v_fmac_f32_e32 v25, 0x3f737871, v5
	v_fmac_f32_e32 v7, 0xbf737871, v4
	;; [unrolled: 1-line block ×3, first 2 shown]
	v_add_f32_e32 v8, v8, v10
	v_fmac_f32_e32 v9, 0x3f167918, v4
	v_add_f32_e32 v1, v1, v2
	v_fmac_f32_e32 v25, 0xbf167918, v4
	v_fmac_f32_e32 v7, 0xbf167918, v5
	v_add_f32_e32 v0, v3, v0
	v_fmac_f32_e32 v6, 0x3e9e377a, v8
	v_add_nc_u32_e32 v2, 0x1c00, v52
	v_fmac_f32_e32 v9, 0x3e9e377a, v1
	v_fmac_f32_e32 v25, 0x3e9e377a, v1
	v_fmac_f32_e32 v7, 0x3e9e377a, v8
	ds_write2_b32 v2, v0, v6 offset0:83 offset1:108
	ds_write2_b32 v2, v9, v25 offset0:133 offset1:158
	ds_write_b32 v52, v7 offset:7900
.LBB0_35:
	s_or_b32 exec_lo, exec_lo, s1
	s_waitcnt lgkmcnt(0)
	s_barrier
	buffer_gl0_inv
	s_and_saveexec_b32 s0, vcc_lo
	s_cbranch_execz .LBB0_37
; %bb.36:
	v_mul_u32_u24_e32 v0, 15, v55
	v_add_nc_u32_e32 v82, 0xfa, v54
	v_add_nc_u32_e32 v83, 0x177, v54
	;; [unrolled: 1-line block ×4, first 2 shown]
	v_lshlrev_b32_e32 v12, 3, v0
	v_add_nc_u32_e32 v81, 0x7d, v54
	v_add_nc_u32_e32 v86, 0x2ee, v54
	;; [unrolled: 1-line block ×4, first 2 shown]
	s_clause 0x7
	global_load_dwordx4 v[24:27], v12, s[8:9] offset:960
	global_load_dwordx4 v[20:23], v12, s[8:9] offset:992
	;; [unrolled: 1-line block ×3, first 2 shown]
	global_load_dwordx2 v[42:43], v12, s[8:9] offset:1072
	global_load_dwordx4 v[4:7], v12, s[8:9] offset:1024
	global_load_dwordx4 v[0:3], v12, s[8:9] offset:1008
	;; [unrolled: 1-line block ×4, first 2 shown]
	ds_read_b32 v51, v58
	ds_read_b32 v46, v46 offset:1500
	v_add_nc_u32_e32 v88, 0x1a00, v58
	v_add_nc_u32_e32 v52, 0xe00, v58
	v_add_nc_u32_e32 v91, 0x600, v58
	v_add_nc_u32_e32 v53, 0x1600, v58
	v_mad_u64_u32 v[55:56], null, s2, v54, 0
	v_mad_u64_u32 v[57:58], null, s2, v82, 0
	;; [unrolled: 1-line block ×5, first 2 shown]
	v_add_nc_u32_e32 v89, 0x3e8, v54
	ds_read_b32 v97, v45
	ds_read_b32 v98, v44
	v_mad_u64_u32 v[44:45], null, s2, v81, 0
	v_mad_u64_u32 v[65:66], null, s2, v86, 0
	v_add_nc_u32_e32 v87, 0x36b, v54
	v_add_nc_u32_e32 v92, 0x465, v54
	v_mad_u64_u32 v[79:80], null, s3, v54, v[56:57]
	v_mov_b32_e32 v56, v58
	v_mad_u64_u32 v[69:70], null, s2, v89, 0
	v_mov_b32_e32 v58, v60
	v_mad_u64_u32 v[67:68], null, s2, v87, 0
	v_mad_u64_u32 v[71:72], null, s2, v92, 0
	v_mov_b32_e32 v60, v62
	v_mov_b32_e32 v62, v64
	s_waitcnt lgkmcnt(2)
	v_mad_u64_u32 v[80:81], null, s3, v81, v[45:46]
	v_mov_b32_e32 v45, v66
	v_mad_u64_u32 v[81:82], null, s3, v82, v[56:57]
	v_mad_u64_u32 v[82:83], null, s3, v83, v[58:59]
	;; [unrolled: 1-line block ×4, first 2 shown]
	v_add_nc_u32_e32 v94, 0x4e2, v54
	v_mad_u64_u32 v[85:86], null, s3, v86, v[45:46]
	v_mov_b32_e32 v45, v70
	v_mov_b32_e32 v56, v68
	;; [unrolled: 1-line block ×3, first 2 shown]
	v_mad_u64_u32 v[73:74], null, s2, v94, 0
	v_mad_u64_u32 v[89:90], null, s3, v89, v[45:46]
	ds_read2_b32 v[75:76], v75 offset0:98 offset1:223
	ds_read2_b32 v[77:78], v77 offset0:110 offset1:235
	v_mad_u64_u32 v[86:87], null, s3, v87, v[56:57]
	v_mov_b32_e32 v56, v79
	ds_read2_b32 v[90:91], v91 offset0:116 offset1:241
	v_mov_b32_e32 v45, v80
	v_mad_u64_u32 v[79:80], null, s3, v92, v[58:59]
	ds_read2_b32 v[92:93], v52 offset0:104 offset1:229
	ds_read2_b32 v[87:88], v88 offset0:86 offset1:211
	;; [unrolled: 1-line block ×3, first 2 shown]
	v_mov_b32_e32 v60, v74
	v_mov_b32_e32 v64, v84
	;; [unrolled: 1-line block ×5, first 2 shown]
	v_mad_u64_u32 v[94:95], null, s3, v94, v[60:61]
	v_mov_b32_e32 v70, v89
	v_lshlrev_b64 v[55:56], 3, v[55:56]
	v_add_co_u32 v28, vcc_lo, s12, v28
	v_mov_b32_e32 v58, v81
	v_add_co_ci_u32_e32 v29, vcc_lo, s13, v29, vcc_lo
	v_mov_b32_e32 v74, v94
	v_lshlrev_b64 v[44:45], 3, v[44:45]
	v_mov_b32_e32 v60, v82
	v_lshlrev_b64 v[57:58], 3, v[57:58]
	v_add_co_u32 v55, vcc_lo, v28, v55
	v_mov_b32_e32 v62, v83
	v_add_co_ci_u32_e32 v56, vcc_lo, v29, v56, vcc_lo
	v_lshlrev_b64 v[59:60], 3, v[59:60]
	v_add_co_u32 v44, vcc_lo, v28, v44
	v_add_co_ci_u32_e32 v45, vcc_lo, v29, v45, vcc_lo
	v_lshlrev_b64 v[61:62], 3, v[61:62]
	v_add_co_u32 v57, vcc_lo, v28, v57
	;; [unrolled: 3-line block ×5, first 2 shown]
	v_add_nc_u32_e32 v99, 0x55f, v54
	v_add_nc_u32_e32 v101, 0x659, v54
	v_add_co_ci_u32_e32 v64, vcc_lo, v29, v64, vcc_lo
	v_lshlrev_b64 v[69:70], 3, v[69:70]
	v_add_co_u32 v65, vcc_lo, v28, v65
	v_add_nc_u32_e32 v100, 0x5dc, v54
	v_add_co_ci_u32_e32 v66, vcc_lo, v29, v66, vcc_lo
	v_mad_u64_u32 v[80:81], null, s2, v99, 0
	v_mad_u64_u32 v[82:83], null, s2, v101, 0
	v_lshlrev_b64 v[71:72], 3, v[71:72]
	v_add_co_u32 v67, vcc_lo, v28, v67
	v_add_co_ci_u32_e32 v68, vcc_lo, v29, v68, vcc_lo
	v_mad_u64_u32 v[95:96], null, s2, v100, 0
	v_add_co_u32 v69, vcc_lo, v28, v69
	v_add_co_ci_u32_e32 v70, vcc_lo, v29, v70, vcc_lo
	v_add_co_u32 v71, vcc_lo, v28, v71
	v_add_co_ci_u32_e32 v72, vcc_lo, v29, v72, vcc_lo
	v_lshlrev_b64 v[73:74], 3, v[73:74]
	s_waitcnt vmcnt(7)
	v_mul_f32_e32 v79, v50, v27
	s_waitcnt lgkmcnt(7)
	v_mul_f32_e32 v27, v97, v27
	v_mul_f32_e32 v84, v49, v25
	s_waitcnt lgkmcnt(6)
	v_mul_f32_e32 v25, v98, v25
	s_waitcnt vmcnt(6)
	v_mul_f32_e32 v85, v38, v22
	v_mul_f32_e32 v86, v35, v20
	;; [unrolled: 1-line block ×4, first 2 shown]
	s_waitcnt vmcnt(5)
	v_mul_f32_e32 v89, v40, v18
	s_waitcnt vmcnt(4)
	v_mul_f32_e32 v94, v41, v42
	v_mul_f32_e32 v41, v41, v43
	;; [unrolled: 1-line block ×3, first 2 shown]
	v_fma_f32 v79, v97, v26, -v79
	v_mul_f32_e32 v97, v37, v16
	v_fmac_f32_e32 v27, v50, v26
	v_mul_f32_e32 v26, v37, v17
	v_fma_f32 v37, v98, v24, -v84
	s_waitcnt vmcnt(3)
	v_mul_f32_e32 v50, v32, v7
	v_fmac_f32_e32 v25, v49, v24
	s_waitcnt vmcnt(2)
	v_mul_f32_e32 v24, v30, v3
	s_waitcnt vmcnt(1)
	v_mul_f32_e32 v49, v34, v10
	;; [unrolled: 2-line block ×3, first 2 shown]
	v_mul_f32_e32 v98, v33, v13
	v_mul_f32_e32 v102, v39, v0
	;; [unrolled: 1-line block ×3, first 2 shown]
	s_waitcnt lgkmcnt(5)
	v_mul_f32_e32 v7, v75, v7
	s_waitcnt lgkmcnt(4)
	v_fmac_f32_e32 v85, v77, v23
	s_waitcnt lgkmcnt(3)
	v_fmac_f32_e32 v86, v91, v21
	v_fma_f32 v20, v91, v20, -v35
	v_mul_f32_e32 v13, v76, v13
	v_mul_f32_e32 v21, v31, v5
	v_mul_f32_e32 v23, v34, v11
	v_mul_f32_e32 v34, v48, v9
	v_mul_f32_e32 v35, v36, v15
	s_waitcnt lgkmcnt(2)
	v_mul_f32_e32 v5, v93, v5
	v_mul_f32_e32 v3, v92, v3
	;; [unrolled: 1-line block ×3, first 2 shown]
	v_fma_f32 v22, v77, v22, -v38
	s_waitcnt lgkmcnt(1)
	v_fmac_f32_e32 v94, v88, v43
	v_fma_f32 v36, v88, v42, -v41
	v_fmac_f32_e32 v89, v87, v19
	v_fma_f32 v18, v87, v18, -v40
	s_waitcnt lgkmcnt(0)
	v_fmac_f32_e32 v97, v53, v17
	v_fma_f32 v16, v53, v16, -v26
	v_fma_f32 v17, v75, v6, -v50
	;; [unrolled: 1-line block ×5, first 2 shown]
	v_fmac_f32_e32 v102, v78, v1
	v_fma_f32 v0, v78, v0, -v39
	v_fma_f32 v1, v46, v8, -v34
	v_fmac_f32_e32 v9, v48, v8
	v_fmac_f32_e32 v49, v90, v11
	;; [unrolled: 1-line block ×6, first 2 shown]
	v_fma_f32 v4, v90, v10, -v23
	v_fma_f32 v6, v52, v14, -v35
	v_fmac_f32_e32 v3, v30, v2
	v_sub_f32_e32 v2, v79, v17
	v_sub_f32_e32 v8, v85, v89
	;; [unrolled: 1-line block ×18, first 2 shown]
	v_add_f32_e32 v24, v7, v12
	v_sub_f32_e32 v26, v14, v15
	v_sub_f32_e32 v30, v17, v18
	v_add_f32_e32 v31, v13, v19
	v_add_f32_e32 v32, v5, v16
	;; [unrolled: 1-line block ×3, first 2 shown]
	v_fma_f32 v34, v51, 2.0, -v10
	v_fma_f32 v4, v4, 2.0, -v6
	;; [unrolled: 1-line block ×16, first 2 shown]
	v_fmamk_f32 v25, v21, 0x3f3504f3, v23
	v_fmamk_f32 v35, v26, 0x3f3504f3, v30
	;; [unrolled: 1-line block ×4, first 2 shown]
	v_sub_f32_e32 v4, v34, v4
	v_sub_f32_e32 v8, v6, v8
	;; [unrolled: 1-line block ×4, first 2 shown]
	v_fma_f32 v38, v10, 2.0, -v23
	v_fma_f32 v10, v2, 2.0, -v21
	;; [unrolled: 1-line block ×8, first 2 shown]
	v_sub_f32_e32 v0, v1, v0
	v_sub_f32_e32 v18, v19, v18
	;; [unrolled: 1-line block ×4, first 2 shown]
	v_fmac_f32_e32 v25, 0xbf3504f3, v24
	v_fmac_f32_e32 v35, 0xbf3504f3, v31
	;; [unrolled: 1-line block ×4, first 2 shown]
	v_sub_f32_e32 v21, v4, v8
	v_sub_f32_e32 v5, v16, v15
	v_fmamk_f32 v31, v10, 0xbf3504f3, v38
	v_fmamk_f32 v41, v14, 0xbf3504f3, v17
	;; [unrolled: 1-line block ×4, first 2 shown]
	v_add_f32_e32 v24, v0, v18
	v_add_f32_e32 v26, v12, v11
	v_fma_f32 v34, v34, 2.0, -v4
	v_fma_f32 v12, v20, 2.0, -v12
	;; [unrolled: 1-line block ×8, first 2 shown]
	v_fmamk_f32 v1, v35, 0x3f6c835e, v25
	v_fmamk_f32 v0, v36, 0x3f6c835e, v37
	v_fmamk_f32 v3, v5, 0x3f3504f3, v21
	v_fmac_f32_e32 v31, 0xbf3504f3, v7
	v_fmac_f32_e32 v41, 0xbf3504f3, v13
	;; [unrolled: 1-line block ×4, first 2 shown]
	v_fma_f32 v46, v23, 2.0, -v25
	v_fma_f32 v23, v30, 2.0, -v35
	;; [unrolled: 1-line block ×6, first 2 shown]
	v_fmamk_f32 v2, v24, 0x3f3504f3, v26
	v_sub_f32_e32 v22, v34, v12
	v_sub_f32_e32 v12, v19, v9
	;; [unrolled: 1-line block ×4, first 2 shown]
	v_fma_f32 v18, v18, 2.0, -v24
	v_fma_f32 v48, v11, 2.0, -v26
	v_fmac_f32_e32 v1, 0xbec3ef15, v36
	v_fmac_f32_e32 v0, 0x3ec3ef15, v35
	;; [unrolled: 1-line block ×3, first 2 shown]
	v_fmamk_f32 v11, v33, 0xbf3504f3, v32
	v_fma_f32 v24, v38, 2.0, -v31
	v_fma_f32 v35, v17, 2.0, -v41
	;; [unrolled: 1-line block ×4, first 2 shown]
	v_fmac_f32_e32 v2, 0x3f3504f3, v5
	v_fmamk_f32 v5, v41, 0x3ec3ef15, v31
	v_fma_f32 v34, v34, 2.0, -v22
	v_fma_f32 v20, v20, 2.0, -v13
	;; [unrolled: 1-line block ×4, first 2 shown]
	v_fmamk_f32 v10, v18, 0xbf3504f3, v48
	v_fmac_f32_e32 v11, 0xbf3504f3, v18
	v_fmamk_f32 v19, v35, 0xbf6c835e, v24
	v_fmamk_f32 v18, v36, 0xbf6c835e, v38
	;; [unrolled: 1-line block ×5, first 2 shown]
	v_fma_f32 v15, v21, 2.0, -v3
	v_fmac_f32_e32 v5, 0xbf6c835e, v42
	v_sub_f32_e32 v21, v34, v20
	v_sub_f32_e32 v20, v39, v40
	v_add_f32_e32 v6, v27, v13
	v_fmac_f32_e32 v19, 0xbec3ef15, v36
	v_fmac_f32_e32 v18, 0x3ec3ef15, v35
	;; [unrolled: 1-line block ×5, first 2 shown]
	v_sub_f32_e32 v7, v22, v12
	v_fmac_f32_e32 v4, 0x3f6c835e, v41
	v_fma_f32 v23, v31, 2.0, -v5
	v_fma_f32 v31, v34, 2.0, -v21
	;; [unrolled: 1-line block ×15, first 2 shown]
	global_store_dwordx2 v[55:56], v[30:31], off
	global_store_dwordx2 v[44:45], v[32:33], off
	;; [unrolled: 1-line block ×10, first 2 shown]
	v_mad_u64_u32 v[15:16], null, s3, v99, v[81:82]
	v_mov_b32_e32 v14, v96
	v_add_nc_u32_e32 v21, 0x6d6, v54
	v_add_co_u32 v12, vcc_lo, v28, v73
	v_add_nc_u32_e32 v22, 0x753, v54
	v_add_co_ci_u32_e32 v13, vcc_lo, v29, v74, vcc_lo
	v_mad_u64_u32 v[16:17], null, s3, v100, v[14:15]
	v_mov_b32_e32 v14, v83
	v_mad_u64_u32 v[17:18], null, s2, v21, 0
	v_mov_b32_e32 v81, v15
	global_store_dwordx2 v[12:13], v[10:11], off
	v_mad_u64_u32 v[19:20], null, s3, v101, v[14:15]
	v_mad_u64_u32 v[14:15], null, s2, v22, 0
	v_lshlrev_b64 v[11:12], 3, v[80:81]
	v_mov_b32_e32 v10, v18
	v_mov_b32_e32 v96, v16
	;; [unrolled: 1-line block ×3, first 2 shown]
	v_mad_u64_u32 v[18:19], null, s3, v21, v[10:11]
	v_mov_b32_e32 v10, v15
	v_add_co_u32 v11, vcc_lo, v28, v11
	v_lshlrev_b64 v[15:16], 3, v[95:96]
	v_add_co_ci_u32_e32 v12, vcc_lo, v29, v12, vcc_lo
	v_mad_u64_u32 v[19:20], null, s3, v22, v[10:11]
	v_lshlrev_b64 v[20:21], 3, v[82:83]
	v_add_co_u32 v22, vcc_lo, v28, v15
	v_add_co_ci_u32_e32 v23, vcc_lo, v29, v16, vcc_lo
	v_lshlrev_b64 v[16:17], 3, v[17:18]
	v_mov_b32_e32 v15, v19
	v_add_co_u32 v18, vcc_lo, v28, v20
	v_add_co_ci_u32_e32 v19, vcc_lo, v29, v21, vcc_lo
	v_lshlrev_b64 v[13:14], 3, v[14:15]
	v_add_co_u32 v15, vcc_lo, v28, v16
	v_add_co_ci_u32_e32 v16, vcc_lo, v29, v17, vcc_lo
	v_add_co_u32 v13, vcc_lo, v28, v13
	v_add_co_ci_u32_e32 v14, vcc_lo, v29, v14, vcc_lo
	global_store_dwordx2 v[11:12], v[8:9], off
	global_store_dwordx2 v[22:23], v[6:7], off
	;; [unrolled: 1-line block ×5, first 2 shown]
.LBB0_37:
	s_endpgm
	.section	.rodata,"a",@progbits
	.p2align	6, 0x0
	.amdhsa_kernel fft_rtc_back_len2000_factors_5_5_5_16_wgs_125_tpt_125_halfLds_sp_ip_CI_sbrr_dirReg
		.amdhsa_group_segment_fixed_size 0
		.amdhsa_private_segment_fixed_size 0
		.amdhsa_kernarg_size 88
		.amdhsa_user_sgpr_count 6
		.amdhsa_user_sgpr_private_segment_buffer 1
		.amdhsa_user_sgpr_dispatch_ptr 0
		.amdhsa_user_sgpr_queue_ptr 0
		.amdhsa_user_sgpr_kernarg_segment_ptr 1
		.amdhsa_user_sgpr_dispatch_id 0
		.amdhsa_user_sgpr_flat_scratch_init 0
		.amdhsa_user_sgpr_private_segment_size 0
		.amdhsa_wavefront_size32 1
		.amdhsa_uses_dynamic_stack 0
		.amdhsa_system_sgpr_private_segment_wavefront_offset 0
		.amdhsa_system_sgpr_workgroup_id_x 1
		.amdhsa_system_sgpr_workgroup_id_y 0
		.amdhsa_system_sgpr_workgroup_id_z 0
		.amdhsa_system_sgpr_workgroup_info 0
		.amdhsa_system_vgpr_workitem_id 0
		.amdhsa_next_free_vgpr 105
		.amdhsa_next_free_sgpr 23
		.amdhsa_reserve_vcc 1
		.amdhsa_reserve_flat_scratch 0
		.amdhsa_float_round_mode_32 0
		.amdhsa_float_round_mode_16_64 0
		.amdhsa_float_denorm_mode_32 3
		.amdhsa_float_denorm_mode_16_64 3
		.amdhsa_dx10_clamp 1
		.amdhsa_ieee_mode 1
		.amdhsa_fp16_overflow 0
		.amdhsa_workgroup_processor_mode 1
		.amdhsa_memory_ordered 1
		.amdhsa_forward_progress 0
		.amdhsa_shared_vgpr_count 0
		.amdhsa_exception_fp_ieee_invalid_op 0
		.amdhsa_exception_fp_denorm_src 0
		.amdhsa_exception_fp_ieee_div_zero 0
		.amdhsa_exception_fp_ieee_overflow 0
		.amdhsa_exception_fp_ieee_underflow 0
		.amdhsa_exception_fp_ieee_inexact 0
		.amdhsa_exception_int_div_zero 0
	.end_amdhsa_kernel
	.text
.Lfunc_end0:
	.size	fft_rtc_back_len2000_factors_5_5_5_16_wgs_125_tpt_125_halfLds_sp_ip_CI_sbrr_dirReg, .Lfunc_end0-fft_rtc_back_len2000_factors_5_5_5_16_wgs_125_tpt_125_halfLds_sp_ip_CI_sbrr_dirReg
                                        ; -- End function
	.section	.AMDGPU.csdata,"",@progbits
; Kernel info:
; codeLenInByte = 12236
; NumSgprs: 25
; NumVgprs: 105
; ScratchSize: 0
; MemoryBound: 0
; FloatMode: 240
; IeeeMode: 1
; LDSByteSize: 0 bytes/workgroup (compile time only)
; SGPRBlocks: 3
; VGPRBlocks: 13
; NumSGPRsForWavesPerEU: 25
; NumVGPRsForWavesPerEU: 105
; Occupancy: 9
; WaveLimiterHint : 1
; COMPUTE_PGM_RSRC2:SCRATCH_EN: 0
; COMPUTE_PGM_RSRC2:USER_SGPR: 6
; COMPUTE_PGM_RSRC2:TRAP_HANDLER: 0
; COMPUTE_PGM_RSRC2:TGID_X_EN: 1
; COMPUTE_PGM_RSRC2:TGID_Y_EN: 0
; COMPUTE_PGM_RSRC2:TGID_Z_EN: 0
; COMPUTE_PGM_RSRC2:TIDIG_COMP_CNT: 0
	.text
	.p2alignl 6, 3214868480
	.fill 48, 4, 3214868480
	.type	__hip_cuid_3228180c41b8caba,@object ; @__hip_cuid_3228180c41b8caba
	.section	.bss,"aw",@nobits
	.globl	__hip_cuid_3228180c41b8caba
__hip_cuid_3228180c41b8caba:
	.byte	0                               ; 0x0
	.size	__hip_cuid_3228180c41b8caba, 1

	.ident	"AMD clang version 19.0.0git (https://github.com/RadeonOpenCompute/llvm-project roc-6.4.0 25133 c7fe45cf4b819c5991fe208aaa96edf142730f1d)"
	.section	".note.GNU-stack","",@progbits
	.addrsig
	.addrsig_sym __hip_cuid_3228180c41b8caba
	.amdgpu_metadata
---
amdhsa.kernels:
  - .args:
      - .actual_access:  read_only
        .address_space:  global
        .offset:         0
        .size:           8
        .value_kind:     global_buffer
      - .offset:         8
        .size:           8
        .value_kind:     by_value
      - .actual_access:  read_only
        .address_space:  global
        .offset:         16
        .size:           8
        .value_kind:     global_buffer
      - .actual_access:  read_only
        .address_space:  global
        .offset:         24
        .size:           8
        .value_kind:     global_buffer
      - .offset:         32
        .size:           8
        .value_kind:     by_value
      - .actual_access:  read_only
        .address_space:  global
        .offset:         40
        .size:           8
        .value_kind:     global_buffer
      - .actual_access:  read_only
        .address_space:  global
        .offset:         48
        .size:           8
        .value_kind:     global_buffer
      - .offset:         56
        .size:           4
        .value_kind:     by_value
      - .actual_access:  read_only
        .address_space:  global
        .offset:         64
        .size:           8
        .value_kind:     global_buffer
      - .actual_access:  read_only
        .address_space:  global
        .offset:         72
        .size:           8
        .value_kind:     global_buffer
      - .address_space:  global
        .offset:         80
        .size:           8
        .value_kind:     global_buffer
    .group_segment_fixed_size: 0
    .kernarg_segment_align: 8
    .kernarg_segment_size: 88
    .language:       OpenCL C
    .language_version:
      - 2
      - 0
    .max_flat_workgroup_size: 125
    .name:           fft_rtc_back_len2000_factors_5_5_5_16_wgs_125_tpt_125_halfLds_sp_ip_CI_sbrr_dirReg
    .private_segment_fixed_size: 0
    .sgpr_count:     25
    .sgpr_spill_count: 0
    .symbol:         fft_rtc_back_len2000_factors_5_5_5_16_wgs_125_tpt_125_halfLds_sp_ip_CI_sbrr_dirReg.kd
    .uniform_work_group_size: 1
    .uses_dynamic_stack: false
    .vgpr_count:     105
    .vgpr_spill_count: 0
    .wavefront_size: 32
    .workgroup_processor_mode: 1
amdhsa.target:   amdgcn-amd-amdhsa--gfx1030
amdhsa.version:
  - 1
  - 2
...

	.end_amdgpu_metadata
